;; amdgpu-corpus repo=ROCm/rocFFT kind=compiled arch=gfx950 opt=O3
	.text
	.amdgcn_target "amdgcn-amd-amdhsa--gfx950"
	.amdhsa_code_object_version 6
	.protected	bluestein_single_fwd_len1224_dim1_dp_op_CI_CI ; -- Begin function bluestein_single_fwd_len1224_dim1_dp_op_CI_CI
	.globl	bluestein_single_fwd_len1224_dim1_dp_op_CI_CI
	.p2align	8
	.type	bluestein_single_fwd_len1224_dim1_dp_op_CI_CI,@function
bluestein_single_fwd_len1224_dim1_dp_op_CI_CI: ; @bluestein_single_fwd_len1224_dim1_dp_op_CI_CI
; %bb.0:
	s_load_dwordx4 s[8:11], s[0:1], 0x28
	v_mul_u32_u24_e32 v1, 0x283, v0
	v_lshrrev_b32_e32 v1, 16, v1
	v_mov_b32_e32 v205, 0
	v_lshl_add_u32 v208, s2, 1, v1
	v_mov_b32_e32 v209, v205
	s_waitcnt lgkmcnt(0)
	v_cmp_gt_u64_e32 vcc, s[8:9], v[208:209]
	s_and_saveexec_b64 s[2:3], vcc
	s_cbranch_execz .LBB0_15
; %bb.1:
	s_load_dwordx2 s[8:9], s[0:1], 0x0
	s_load_dwordx2 s[12:13], s[0:1], 0x38
	v_mul_lo_u16_e32 v2, 0x66, v1
	v_sub_u16_e32 v204, v0, v2
	v_and_b32_e32 v0, 1, v1
	v_mov_b32_e32 v1, 0x4c8
	v_cmp_eq_u32_e32 vcc, 1, v0
	s_movk_i32 s2, 0x48
	v_lshlrev_b32_e32 v206, 4, v204
	v_cndmask_b32_e32 v207, 0, v1, vcc
	v_cmp_gt_u16_e32 vcc, s2, v204
	v_lshlrev_b32_e32 v209, 4, v207
	s_and_saveexec_b64 s[14:15], vcc
	s_cbranch_execz .LBB0_3
; %bb.2:
	s_load_dwordx2 s[2:3], s[0:1], 0x18
	v_mov_b32_e32 v28, v207
	v_mov_b32_e32 v207, 0
	s_waitcnt lgkmcnt(0)
	v_lshl_add_u64 v[102:103], s[8:9], 0, v[206:207]
	v_mov_b32_e32 v0, s10
	s_load_dwordx4 s[4:7], s[2:3], 0x0
	v_mov_b32_e32 v1, s11
	v_mov_b32_e32 v25, 0x480
	v_or_b32_e32 v27, 0x480, v204
	v_lshlrev_b32_e32 v58, 4, v27
	s_waitcnt lgkmcnt(0)
	v_mad_u64_u32 v[2:3], s[2:3], s6, v208, 0
	v_mad_u64_u32 v[4:5], s[2:3], s4, v204, 0
	v_mov_b32_e32 v6, v3
	v_mov_b32_e32 v8, v5
	v_mad_u64_u32 v[6:7], s[2:3], s7, v208, v[6:7]
	v_mov_b32_e32 v3, v6
	v_mad_u64_u32 v[6:7], s[2:3], s5, v204, v[8:9]
	s_movk_i32 s2, 0x1000
	s_nop 0
	v_add_co_u32_e64 v56, s[2:3], s2, v102
	v_mov_b32_e32 v5, v6
	v_lshl_add_u64 v[20:21], v[2:3], 4, v[0:1]
	s_movk_i32 s6, 0x2000
	v_addc_co_u32_e64 v57, s[2:3], 0, v103, s[2:3]
	v_lshl_add_u64 v[22:23], v[4:5], 4, v[20:21]
	v_add_co_u32_e64 v112, s[2:3], s6, v102
	global_load_dwordx4 v[0:3], v206, s[8:9]
	global_load_dwordx4 v[4:7], v[22:23], off
	v_addc_co_u32_e64 v113, s[2:3], 0, v103, s[2:3]
	s_mul_i32 s6, s5, 0x480
	v_mad_u64_u32 v[22:23], s[2:3], s4, v25, v[22:23]
	v_add_u32_e32 v23, s6, v23
	v_mad_u64_u32 v[64:65], s[2:3], s4, v25, v[22:23]
	v_add_u32_e32 v65, s6, v65
	global_load_dwordx4 v[8:11], v206, s[8:9] offset:1152
	global_load_dwordx4 v[12:15], v206, s[8:9] offset:2304
	;; [unrolled: 1-line block ×3, first 2 shown]
	v_mov_b32_e32 v207, v28
	global_load_dwordx4 v[28:31], v58, s[8:9]
	global_load_dwordx4 v[32:35], v[56:57], off offset:512
	global_load_dwordx4 v[36:39], v[56:57], off offset:1664
	;; [unrolled: 1-line block ×6, first 2 shown]
	s_nop 0
	global_load_dwordx4 v[56:59], v[22:23], off
	global_load_dwordx4 v[60:63], v[64:65], off
	v_mad_u64_u32 v[22:23], s[2:3], s4, v25, v[64:65]
	v_add_u32_e32 v23, s6, v23
	v_mad_u64_u32 v[72:73], s[2:3], s4, v25, v[22:23]
	v_add_u32_e32 v73, s6, v73
	global_load_dwordx4 v[64:67], v[22:23], off
	global_load_dwordx4 v[68:71], v[72:73], off
	v_mad_u64_u32 v[22:23], s[2:3], s4, v25, v[72:73]
	v_add_u32_e32 v23, s6, v23
	global_load_dwordx4 v[72:75], v[22:23], off
	v_mad_u64_u32 v[22:23], s[2:3], s4, v25, v[22:23]
	v_add_u32_e32 v23, s6, v23
	;; [unrolled: 3-line block ×6, first 2 shown]
	s_movk_i32 s7, 0x3000
	global_load_dwordx4 v[92:95], v[22:23], off
	v_mad_u64_u32 v[22:23], s[2:3], s4, v25, v[22:23]
	v_add_u32_e32 v23, s6, v23
	v_add_co_u32_e64 v132, s[2:3], s7, v102
	global_load_dwordx4 v[96:99], v[22:23], off
	s_nop 0
	v_addc_co_u32_e64 v133, s[2:3], 0, v103, s[2:3]
	v_mad_u64_u32 v[22:23], s[2:3], s4, v25, v[22:23]
	v_add_u32_e32 v23, s6, v23
	global_load_dwordx4 v[104:107], v[112:113], off offset:3328
	global_load_dwordx4 v[108:111], v[132:133], off offset:384
	v_lshl_add_u32 v26, v204, 4, v209
	global_load_dwordx4 v[112:115], v[22:23], off
	v_mad_u64_u32 v[22:23], s[2:3], s4, v25, v[22:23]
	v_add_u32_e32 v23, s6, v23
	global_load_dwordx4 v[116:119], v[22:23], off
	global_load_dwordx4 v[120:123], v[132:133], off offset:1536
	global_load_dwordx4 v[124:127], v[132:133], off offset:2688
	v_mad_u64_u32 v[22:23], s[2:3], s4, v25, v[22:23]
	v_add_u32_e32 v23, s6, v23
	global_load_dwordx4 v[128:131], v[22:23], off
	v_mad_u64_u32 v[22:23], s[2:3], s4, v25, v[22:23]
	s_movk_i32 s2, 0x4000
	s_nop 0
	v_add_co_u32_e64 v102, s[2:3], s2, v102
	v_add_u32_e32 v23, s6, v23
	s_nop 0
	v_addc_co_u32_e64 v103, s[2:3], 0, v103, s[2:3]
	v_mad_u64_u32 v[144:145], s[2:3], s4, v27, 0
	global_load_dwordx4 v[132:135], v[132:133], off offset:3840
	v_mov_b32_e32 v146, v145
	global_load_dwordx4 v[136:139], v[22:23], off
	global_load_dwordx4 v[140:143], v[102:103], off offset:896
	v_mad_u64_u32 v[22:23], s[2:3], s5, v27, v[146:147]
	v_mov_b32_e32 v145, v22
	v_lshl_add_u64 v[20:21], v[144:145], 4, v[20:21]
	global_load_dwordx4 v[20:23], v[20:21], off
	s_waitcnt vmcnt(32)
	v_mul_f64 v[100:101], v[6:7], v[2:3]
	v_mul_f64 v[2:3], v[4:5], v[2:3]
	v_fmac_f64_e32 v[100:101], v[4:5], v[0:1]
	v_fma_f64 v[102:103], v[6:7], v[0:1], -v[2:3]
	v_add_u32_e32 v24, v209, v206
	ds_write_b128 v26, v[100:103]
	s_waitcnt vmcnt(21)
	v_mul_f64 v[0:1], v[58:59], v[10:11]
	v_mul_f64 v[2:3], v[56:57], v[10:11]
	v_fmac_f64_e32 v[0:1], v[56:57], v[8:9]
	v_fma_f64 v[2:3], v[58:59], v[8:9], -v[2:3]
	ds_write_b128 v24, v[0:3] offset:1152
	s_waitcnt vmcnt(20)
	v_mul_f64 v[0:1], v[62:63], v[14:15]
	v_mul_f64 v[2:3], v[60:61], v[14:15]
	v_fmac_f64_e32 v[0:1], v[60:61], v[12:13]
	v_fma_f64 v[2:3], v[62:63], v[12:13], -v[2:3]
	ds_write_b128 v24, v[0:3] offset:2304
	s_waitcnt vmcnt(19)
	v_mul_f64 v[0:1], v[64:65], v[18:19]
	v_fma_f64 v[2:3], v[66:67], v[16:17], -v[0:1]
	v_mul_f64 v[0:1], v[66:67], v[18:19]
	v_fmac_f64_e32 v[0:1], v[64:65], v[16:17]
	ds_write_b128 v24, v[0:3] offset:3456
	s_waitcnt vmcnt(18)
	v_mul_f64 v[0:1], v[70:71], v[34:35]
	v_mul_f64 v[2:3], v[68:69], v[34:35]
	v_fmac_f64_e32 v[0:1], v[68:69], v[32:33]
	v_fma_f64 v[2:3], v[70:71], v[32:33], -v[2:3]
	ds_write_b128 v24, v[0:3] offset:4608
	s_waitcnt vmcnt(17)
	v_mul_f64 v[0:1], v[74:75], v[38:39]
	v_mul_f64 v[2:3], v[72:73], v[38:39]
	v_fmac_f64_e32 v[0:1], v[72:73], v[36:37]
	v_fma_f64 v[2:3], v[74:75], v[36:37], -v[2:3]
	;; [unrolled: 6-line block ×13, first 2 shown]
	ds_write_b128 v24, v[0:3] offset:18432
.LBB0_3:
	s_or_b64 exec, exec, s[14:15]
	s_load_dwordx2 s[4:5], s[0:1], 0x20
	s_load_dwordx2 s[2:3], s[0:1], 0x8
	s_waitcnt lgkmcnt(0)
	s_barrier
	s_waitcnt lgkmcnt(0)
                                        ; implicit-def: $vgpr20_vgpr21
                                        ; implicit-def: $vgpr24_vgpr25
                                        ; implicit-def: $vgpr32_vgpr33
                                        ; implicit-def: $vgpr40_vgpr41
                                        ; implicit-def: $vgpr52_vgpr53
                                        ; implicit-def: $vgpr60_vgpr61
                                        ; implicit-def: $vgpr68_vgpr69
                                        ; implicit-def: $vgpr72_vgpr73
                                        ; implicit-def: $vgpr76_vgpr77
                                        ; implicit-def: $vgpr80_vgpr81
                                        ; implicit-def: $vgpr84_vgpr85
                                        ; implicit-def: $vgpr64_vgpr65
                                        ; implicit-def: $vgpr56_vgpr57
                                        ; implicit-def: $vgpr48_vgpr49
                                        ; implicit-def: $vgpr44_vgpr45
                                        ; implicit-def: $vgpr36_vgpr37
                                        ; implicit-def: $vgpr28_vgpr29
	s_and_saveexec_b64 s[0:1], vcc
	s_cbranch_execz .LBB0_5
; %bb.4:
	v_lshl_add_u32 v0, v207, 4, v206
	ds_read_b128 v[20:23], v0
	ds_read_b128 v[28:31], v0 offset:1152
	ds_read_b128 v[36:39], v0 offset:2304
	;; [unrolled: 1-line block ×16, first 2 shown]
.LBB0_5:
	s_or_b64 exec, exec, s[0:1]
	s_mov_b32 s20, 0x5d8e7cdc
	s_waitcnt lgkmcnt(0)
	v_add_f64 v[104:105], v[30:31], -v[86:87]
	s_mov_b32 s0, 0x370991
	s_mov_b32 s21, 0xbfd71e95
	;; [unrolled: 1-line block ×3, first 2 shown]
	v_add_f64 v[132:133], v[84:85], v[28:29]
	v_add_f64 v[108:109], v[28:29], -v[84:85]
	s_mov_b32 s1, 0x3fedd6d0
	v_mul_f64 v[94:95], v[104:105], s[20:21]
	s_mov_b32 s16, 0x75d4884
	s_mov_b32 s25, 0xbfe58eea
	v_add_f64 v[106:107], v[38:39], -v[82:83]
	v_add_f64 v[134:135], v[86:87], v[30:31]
	v_mul_f64 v[96:97], v[108:109], s[20:21]
	v_fma_f64 v[0:1], s[0:1], v[132:133], v[94:95]
	s_mov_b32 s17, 0x3fe7a5f6
	s_mov_b32 s28, 0x7c9e640b
	v_add_f64 v[140:141], v[80:81], v[36:37]
	v_add_f64 v[110:111], v[36:37], -v[80:81]
	v_mul_f64 v[98:99], v[106:107], s[24:25]
	v_add_f64 v[0:1], v[20:21], v[0:1]
	v_fma_f64 v[2:3], v[134:135], s[0:1], -v[96:97]
	s_mov_b32 s6, 0x2b2883cd
	s_mov_b32 s29, 0xbfeca52d
	v_add_f64 v[144:145], v[82:83], v[38:39]
	v_mul_f64 v[100:101], v[110:111], s[24:25]
	v_fma_f64 v[4:5], s[16:17], v[140:141], v[98:99]
	v_add_f64 v[114:115], v[26:27], -v[78:79]
	v_add_f64 v[2:3], v[22:23], v[2:3]
	s_mov_b32 s7, 0x3fdc86fa
	v_add_f64 v[0:1], v[4:5], v[0:1]
	v_fma_f64 v[4:5], v[144:145], s[16:17], -v[100:101]
	v_add_f64 v[150:151], v[24:25], v[76:77]
	v_add_f64 v[112:113], v[24:25], -v[76:77]
	v_mul_f64 v[102:103], v[114:115], s[28:29]
	s_mov_b32 s34, 0xeb564b22
	v_add_f64 v[2:3], v[4:5], v[2:3]
	v_add_f64 v[152:153], v[26:27], v[78:79]
	v_mul_f64 v[6:7], v[112:113], s[28:29]
	v_fma_f64 v[4:5], s[6:7], v[150:151], v[102:103]
	s_mov_b32 s35, 0xbfefdd0d
	v_add_f64 v[0:1], v[4:5], v[0:1]
	v_fma_f64 v[4:5], v[152:153], s[6:7], -v[6:7]
	v_add_f64 v[118:119], v[34:35], -v[74:75]
	s_mov_b32 s14, 0x3259b75e
	v_add_f64 v[2:3], v[4:5], v[2:3]
	v_mul_f64 v[4:5], v[118:119], s[34:35]
	s_mov_b32 s15, 0x3fb79ee6
	v_accvgpr_write_b32 a27, v7
	v_add_f64 v[156:157], v[32:33], v[72:73]
	v_add_f64 v[116:117], v[32:33], -v[72:73]
	v_accvgpr_write_b32 a29, v5
	s_mov_b32 s36, 0x923c349f
	v_accvgpr_write_b32 a26, v6
	v_add_f64 v[158:159], v[34:35], v[74:75]
	v_mul_f64 v[6:7], v[116:117], s[34:35]
	v_accvgpr_write_b32 a28, v4
	v_fma_f64 v[4:5], s[14:15], v[156:157], v[4:5]
	s_mov_b32 s37, 0xbfeec746
	v_add_f64 v[0:1], v[4:5], v[0:1]
	v_fma_f64 v[4:5], v[158:159], s[14:15], -v[6:7]
	v_add_f64 v[234:235], v[46:47], -v[70:71]
	s_mov_b32 s10, 0xc61f0d01
	v_add_f64 v[2:3], v[4:5], v[2:3]
	v_mul_f64 v[4:5], v[234:235], s[36:37]
	s_mov_b32 s11, 0xbfd183b1
	v_add_f64 v[162:163], v[68:69], v[44:45]
	v_accvgpr_write_b32 a33, v5
	v_accvgpr_write_b32 a32, v4
	v_fma_f64 v[4:5], s[10:11], v[162:163], v[4:5]
	v_add_f64 v[222:223], v[44:45], -v[68:69]
	v_add_f64 v[0:1], v[4:5], v[0:1]
	v_mul_f64 v[4:5], v[222:223], s[36:37]
	v_accvgpr_write_b32 a31, v7
	v_add_f64 v[166:167], v[70:71], v[46:47]
	v_accvgpr_write_b32 a35, v5
	s_mov_b32 s38, 0x6c9a05f6
	v_accvgpr_write_b32 a30, v6
	v_accvgpr_write_b32 a34, v4
	v_fma_f64 v[4:5], v[166:167], s[10:11], -v[4:5]
	s_mov_b32 s39, 0xbfe9895b
	v_add_f64 v[6:7], v[50:51], -v[62:63]
	v_add_f64 v[2:3], v[4:5], v[2:3]
	s_mov_b32 s18, 0x6ed5f1bb
	v_mul_f64 v[4:5], v[6:7], s[38:39]
	s_mov_b32 s19, 0xbfe348c8
	v_add_f64 v[168:169], v[60:61], v[48:49]
	v_accvgpr_write_b32 a37, v5
	v_accvgpr_write_b32 a36, v4
	v_fma_f64 v[4:5], s[18:19], v[168:169], v[4:5]
	v_add_f64 v[184:185], v[48:49], -v[60:61]
	v_add_f64 v[0:1], v[4:5], v[0:1]
	v_mul_f64 v[4:5], v[184:185], s[38:39]
	v_add_f64 v[172:173], v[62:63], v[50:51]
	v_accvgpr_write_b32 a39, v5
	s_mov_b32 s44, 0x4363dd80
	v_accvgpr_write_b32 a38, v4
	v_fma_f64 v[4:5], v[172:173], s[18:19], -v[4:5]
	s_mov_b32 s45, 0x3fe0d888
	s_mov_b32 s41, 0xbfe0d888
	;; [unrolled: 1-line block ×3, first 2 shown]
	v_add_f64 v[192:193], v[42:43], -v[66:67]
	v_add_f64 v[2:3], v[4:5], v[2:3]
	s_mov_b32 s22, 0x910ea3b9
	v_mul_f64 v[4:5], v[192:193], s[40:41]
	s_mov_b32 s23, 0xbfeb34fa
	v_add_f64 v[174:175], v[40:41], v[64:65]
	v_accvgpr_write_b32 a41, v5
	v_accvgpr_write_b32 a40, v4
	v_fma_f64 v[4:5], s[22:23], v[174:175], v[4:5]
	v_add_f64 v[18:19], v[40:41], -v[64:65]
	v_add_f64 v[0:1], v[4:5], v[0:1]
	v_mul_f64 v[4:5], v[18:19], s[40:41]
	v_add_f64 v[178:179], v[42:43], v[66:67]
	v_accvgpr_write_b32 a43, v5
	s_mov_b32 s42, 0xacd6c6b4
	v_accvgpr_write_b32 a42, v4
	v_fma_f64 v[4:5], v[178:179], s[22:23], -v[4:5]
	s_mov_b32 s43, 0xbfc7851a
	v_add_f64 v[254:255], v[54:55], -v[58:59]
	v_add_f64 v[2:3], v[4:5], v[2:3]
	s_mov_b32 s26, 0x7faef3
	v_mul_f64 v[4:5], v[254:255], s[42:43]
	s_mov_b32 s27, 0xbfef7484
	v_add_f64 v[190:191], v[52:53], v[56:57]
	v_accvgpr_write_b32 a45, v5
	v_accvgpr_write_b32 a44, v4
	v_fma_f64 v[4:5], s[26:27], v[190:191], v[4:5]
	v_add_f64 v[252:253], v[52:53], -v[56:57]
	v_add_f64 v[210:211], v[4:5], v[0:1]
	v_mul_f64 v[0:1], v[252:253], s[42:43]
	v_add_f64 v[196:197], v[54:55], v[58:59]
	v_accvgpr_write_b32 a47, v1
	v_accvgpr_write_b32 a46, v0
	v_fma_f64 v[0:1], v[196:197], s[26:27], -v[0:1]
	v_add_f64 v[212:213], v[0:1], v[2:3]
	v_mul_f64 v[0:1], v[104:105], s[24:25]
	v_accvgpr_write_b32 a49, v1
	v_mul_f64 v[2:3], v[106:107], s[34:35]
	v_accvgpr_write_b32 a48, v0
	v_fma_f64 v[0:1], s[16:17], v[132:133], v[0:1]
	v_accvgpr_write_b32 a51, v3
	v_add_f64 v[0:1], v[20:21], v[0:1]
	v_accvgpr_write_b32 a50, v2
	v_fma_f64 v[2:3], s[14:15], v[140:141], v[2:3]
	v_add_f64 v[0:1], v[2:3], v[0:1]
	v_mul_f64 v[2:3], v[108:109], s[24:25]
	v_accvgpr_write_b32 a57, v3
	v_mul_f64 v[4:5], v[110:111], s[34:35]
	v_accvgpr_write_b32 a56, v2
	v_fma_f64 v[2:3], v[134:135], s[16:17], -v[2:3]
	v_accvgpr_write_b32 a59, v5
	v_add_f64 v[2:3], v[22:23], v[2:3]
	v_accvgpr_write_b32 a58, v4
	v_fma_f64 v[4:5], v[144:145], s[14:15], -v[4:5]
	v_add_f64 v[2:3], v[4:5], v[2:3]
	v_mul_f64 v[4:5], v[114:115], s[38:39]
	v_accvgpr_write_b32 a53, v5
	v_accvgpr_write_b32 a52, v4
	v_fma_f64 v[4:5], s[18:19], v[150:151], v[4:5]
	v_add_f64 v[0:1], v[4:5], v[0:1]
	v_mul_f64 v[4:5], v[112:113], s[38:39]
	v_accvgpr_write_b32 a63, v5
	v_accvgpr_write_b32 a62, v4
	v_fma_f64 v[4:5], v[152:153], s[18:19], -v[4:5]
	v_add_f64 v[2:3], v[4:5], v[2:3]
	v_mul_f64 v[4:5], v[118:119], s[42:43]
	v_accvgpr_write_b32 a55, v5
	v_accvgpr_write_b32 a54, v4
	v_fma_f64 v[4:5], s[26:27], v[156:157], v[4:5]
	v_add_f64 v[0:1], v[4:5], v[0:1]
	v_mul_f64 v[4:5], v[116:117], s[42:43]
	v_accvgpr_write_b32 a67, v5
	;; [unrolled: 10-line block ×3, first 2 shown]
	v_accvgpr_write_b32 a70, v4
	v_fma_f64 v[4:5], v[166:167], s[22:23], -v[4:5]
	s_mov_b32 s47, 0x3feec746
	s_mov_b32 s46, s36
	v_add_f64 v[2:3], v[4:5], v[2:3]
	v_mul_f64 v[4:5], v[6:7], s[46:47]
	v_accvgpr_write_b32 a65, v5
	v_accvgpr_write_b32 a64, v4
	v_fma_f64 v[4:5], s[10:11], v[168:169], v[4:5]
	v_add_f64 v[0:1], v[4:5], v[0:1]
	v_mul_f64 v[4:5], v[184:185], s[46:47]
	v_accvgpr_write_b32 a75, v5
	v_accvgpr_write_b32 a74, v4
	v_fma_f64 v[4:5], v[172:173], s[10:11], -v[4:5]
	s_mov_b32 s49, 0x3feca52d
	s_mov_b32 s48, s28
	v_add_f64 v[2:3], v[4:5], v[2:3]
	v_mul_f64 v[4:5], v[192:193], s[48:49]
	v_accvgpr_write_b32 a69, v5
	v_accvgpr_write_b32 a68, v4
	v_fma_f64 v[4:5], s[6:7], v[174:175], v[4:5]
	v_add_f64 v[0:1], v[4:5], v[0:1]
	v_mul_f64 v[4:5], v[18:19], s[48:49]
	v_accvgpr_write_b32 a77, v5
	;; [unrolled: 12-line block ×3, first 2 shown]
	v_accvgpr_write_b32 a78, v0
	v_fma_f64 v[0:1], v[196:197], s[0:1], -v[0:1]
	v_add_f64 v[216:217], v[0:1], v[2:3]
	v_mul_f64 v[0:1], v[104:105], s[28:29]
	v_accvgpr_write_b32 a81, v1
	v_mul_f64 v[2:3], v[106:107], s[38:39]
	v_accvgpr_write_b32 a80, v0
	v_fma_f64 v[0:1], s[6:7], v[132:133], v[0:1]
	v_accvgpr_write_b32 a83, v3
	v_add_f64 v[0:1], v[20:21], v[0:1]
	v_accvgpr_write_b32 a82, v2
	v_fma_f64 v[2:3], s[18:19], v[140:141], v[2:3]
	v_add_f64 v[0:1], v[2:3], v[0:1]
	v_mul_f64 v[2:3], v[108:109], s[28:29]
	v_accvgpr_write_b32 a93, v3
	v_accvgpr_write_b32 a92, v2
	v_fma_f64 v[2:3], v[134:135], s[6:7], -v[2:3]
	v_mul_f64 v[232:233], v[110:111], s[38:39]
	v_add_f64 v[2:3], v[22:23], v[2:3]
	v_fma_f64 v[4:5], v[144:145], s[18:19], -v[232:233]
	s_mov_b32 s53, 0x3fc7851a
	s_mov_b32 s52, s42
	v_add_f64 v[2:3], v[4:5], v[2:3]
	v_mul_f64 v[4:5], v[114:115], s[52:53]
	v_accvgpr_write_b32 a85, v5
	v_accvgpr_write_b32 a84, v4
	v_fma_f64 v[4:5], s[26:27], v[150:151], v[4:5]
	v_mul_f64 v[242:243], v[112:113], s[52:53]
	v_add_f64 v[0:1], v[4:5], v[0:1]
	v_fma_f64 v[4:5], v[152:153], s[26:27], -v[242:243]
	v_add_f64 v[2:3], v[4:5], v[2:3]
	v_mul_f64 v[4:5], v[118:119], s[46:47]
	v_accvgpr_write_b32 a87, v5
	v_accvgpr_write_b32 a86, v4
	v_fma_f64 v[4:5], s[10:11], v[156:157], v[4:5]
	v_add_f64 v[0:1], v[4:5], v[0:1]
	v_mul_f64 v[4:5], v[116:117], s[46:47]
	v_fma_f64 v[8:9], v[158:159], s[10:11], -v[4:5]
	s_mov_b32 s55, 0x3fe58eea
	s_mov_b32 s54, s24
	v_add_f64 v[2:3], v[8:9], v[2:3]
	v_mul_f64 v[8:9], v[234:235], s[54:55]
	v_accvgpr_write_b32 a89, v9
	v_accvgpr_write_b32 a88, v8
	v_fma_f64 v[8:9], s[16:17], v[162:163], v[8:9]
	v_add_f64 v[0:1], v[8:9], v[0:1]
	v_mul_f64 v[8:9], v[222:223], s[54:55]
	v_fma_f64 v[10:11], v[166:167], s[16:17], -v[8:9]
	v_add_f64 v[2:3], v[10:11], v[2:3]
	v_mul_f64 v[10:11], v[6:7], s[20:21]
	v_accvgpr_write_b32 a91, v11
	v_accvgpr_write_b32 a90, v10
	v_fma_f64 v[10:11], s[0:1], v[168:169], v[10:11]
	v_add_f64 v[0:1], v[10:11], v[0:1]
	v_mul_f64 v[10:11], v[184:185], s[20:21]
	v_fma_f64 v[12:13], v[172:173], s[0:1], -v[10:11]
	v_mul_f64 v[240:241], v[192:193], s[34:35]
	v_add_f64 v[2:3], v[12:13], v[2:3]
	v_fma_f64 v[12:13], s[14:15], v[174:175], v[240:241]
	v_add_f64 v[0:1], v[12:13], v[0:1]
	v_mul_f64 v[12:13], v[18:19], s[34:35]
	v_fma_f64 v[14:15], v[178:179], s[14:15], -v[12:13]
	v_mul_f64 v[186:187], v[254:255], s[40:41]
	v_add_f64 v[2:3], v[14:15], v[2:3]
	v_fma_f64 v[14:15], s[22:23], v[190:191], v[186:187]
	v_mul_f64 v[16:17], v[252:253], s[40:41]
	v_add_f64 v[218:219], v[14:15], v[0:1]
	v_fma_f64 v[0:1], v[196:197], s[22:23], -v[16:17]
	v_mul_f64 v[228:229], v[104:105], s[34:35]
	v_add_f64 v[220:221], v[0:1], v[2:3]
	v_fma_f64 v[0:1], s[14:15], v[132:133], v[228:229]
	v_mul_f64 v[230:231], v[106:107], s[42:43]
	v_add_f64 v[0:1], v[20:21], v[0:1]
	v_fma_f64 v[2:3], s[26:27], v[140:141], v[230:231]
	v_mul_f64 v[248:249], v[108:109], s[34:35]
	v_add_f64 v[0:1], v[2:3], v[0:1]
	v_fma_f64 v[2:3], v[134:135], s[14:15], -v[248:249]
	v_mul_f64 v[120:121], v[110:111], s[42:43]
	v_add_f64 v[2:3], v[22:23], v[2:3]
	v_fma_f64 v[14:15], v[144:145], s[26:27], -v[120:121]
	v_mul_f64 v[244:245], v[114:115], s[46:47]
	v_add_f64 v[2:3], v[14:15], v[2:3]
	v_fma_f64 v[14:15], s[10:11], v[150:151], v[244:245]
	v_mul_f64 v[124:125], v[112:113], s[46:47]
	v_add_f64 v[0:1], v[14:15], v[0:1]
	v_fma_f64 v[14:15], v[152:153], s[10:11], -v[124:125]
	v_mul_f64 v[246:247], v[118:119], s[50:51]
	v_add_f64 v[2:3], v[14:15], v[2:3]
	v_fma_f64 v[14:15], s[0:1], v[156:157], v[246:247]
	;; [unrolled: 6-line block ×4, first 2 shown]
	v_mul_f64 v[138:139], v[184:185], s[40:41]
	s_mov_b32 s59, 0x3fe9895b
	s_mov_b32 s58, s38
	v_add_f64 v[0:1], v[14:15], v[0:1]
	v_fma_f64 v[14:15], v[172:173], s[22:23], -v[138:139]
	v_mul_f64 v[126:127], v[192:193], s[58:59]
	v_add_f64 v[2:3], v[14:15], v[2:3]
	v_fma_f64 v[14:15], s[18:19], v[174:175], v[126:127]
	v_mul_f64 v[142:143], v[18:19], s[58:59]
	v_add_f64 v[0:1], v[14:15], v[0:1]
	v_fma_f64 v[14:15], v[178:179], s[18:19], -v[142:143]
	v_mul_f64 v[130:131], v[254:255], s[54:55]
	v_add_f64 v[2:3], v[14:15], v[2:3]
	v_fma_f64 v[14:15], s[16:17], v[190:191], v[130:131]
	v_mul_f64 v[146:147], v[252:253], s[54:55]
	;; [unrolled: 6-line block ×3, first 2 shown]
	v_add_f64 v[0:1], v[20:21], v[0:1]
	v_fma_f64 v[2:3], s[22:23], v[140:141], v[154:155]
	v_mul_f64 v[170:171], v[108:109], s[36:37]
	v_add_f64 v[0:1], v[2:3], v[0:1]
	v_fma_f64 v[2:3], v[134:135], s[10:11], -v[170:171]
	v_mul_f64 v[180:181], v[110:111], s[44:45]
	v_add_f64 v[2:3], v[22:23], v[2:3]
	v_fma_f64 v[14:15], v[144:145], s[22:23], -v[180:181]
	v_mul_f64 v[160:161], v[114:115], s[54:55]
	v_add_f64 v[2:3], v[14:15], v[2:3]
	v_fma_f64 v[14:15], s[16:17], v[150:151], v[160:161]
	v_add_f64 v[14:15], v[14:15], v[0:1]
	v_mul_f64 v[0:1], v[112:113], s[54:55]
	v_fma_f64 v[88:89], v[152:153], s[16:17], -v[0:1]
	v_mul_f64 v[164:165], v[118:119], s[28:29]
	v_add_f64 v[2:3], v[88:89], v[2:3]
	v_fma_f64 v[88:89], s[6:7], v[156:157], v[164:165]
	v_add_f64 v[88:89], v[88:89], v[14:15]
	v_mul_f64 v[14:15], v[116:117], s[28:29]
	v_fma_f64 v[90:91], v[158:159], s[6:7], -v[14:15]
	v_mul_f64 v[176:177], v[234:235], s[42:43]
	v_add_f64 v[2:3], v[90:91], v[2:3]
	v_fma_f64 v[90:91], s[26:27], v[162:163], v[176:177]
	v_mul_f64 v[194:195], v[222:223], s[42:43]
	s_mov_b32 s57, 0x3fefdd0d
	s_mov_b32 s56, s34
	v_add_f64 v[88:89], v[90:91], v[88:89]
	v_fma_f64 v[90:91], v[166:167], s[26:27], -v[194:195]
	v_mul_f64 v[182:183], v[6:7], s[56:57]
	v_add_f64 v[2:3], v[90:91], v[2:3]
	v_fma_f64 v[90:91], s[14:15], v[168:169], v[182:183]
	v_mul_f64 v[198:199], v[184:185], s[56:57]
	v_add_f64 v[88:89], v[90:91], v[88:89]
	v_fma_f64 v[90:91], v[172:173], s[14:15], -v[198:199]
	v_add_f64 v[90:91], v[90:91], v[2:3]
	v_mul_f64 v[2:3], v[192:193], s[20:21]
	v_fma_f64 v[92:93], s[0:1], v[174:175], v[2:3]
	v_mul_f64 v[200:201], v[18:19], s[20:21]
	v_add_f64 v[88:89], v[92:93], v[88:89]
	v_fma_f64 v[92:93], v[178:179], s[0:1], -v[200:201]
	v_mul_f64 v[188:189], v[254:255], s[38:39]
	v_add_f64 v[90:91], v[92:93], v[90:91]
	v_fma_f64 v[92:93], s[18:19], v[190:191], v[188:189]
	v_mul_f64 v[202:203], v[252:253], s[38:39]
	v_add_f64 v[236:237], v[92:93], v[88:89]
	v_fma_f64 v[88:89], v[196:197], s[18:19], -v[202:203]
	v_add_f64 v[238:239], v[88:89], v[90:91]
	s_barrier
	s_and_saveexec_b64 s[30:31], vcc
	s_cbranch_execz .LBB0_7
; %bb.6:
	v_mul_f64 v[92:93], v[134:135], s[26:27]
	v_accvgpr_write_b32 a99, v95
	v_fma_f64 v[88:89], s[52:53], v[108:109], v[92:93]
	v_accvgpr_write_b32 a98, v94
	v_mul_f64 v[94:95], v[144:145], s[0:1]
	v_accvgpr_write_b32 a105, v97
	v_add_f64 v[88:89], v[22:23], v[88:89]
	v_fma_f64 v[90:91], s[20:21], v[110:111], v[94:95]
	v_accvgpr_write_b32 a104, v96
	v_mul_f64 v[96:97], v[152:153], s[22:23]
	v_accvgpr_write_b32 a101, v99
	v_add_f64 v[88:89], v[90:91], v[88:89]
	;; [unrolled: 5-line block ×5, first 2 shown]
	v_fma_f64 v[90:91], s[28:29], v[184:185], v[102:103]
	v_accvgpr_write_b32 a1, v205
	v_mul_f64 v[204:205], v[178:179], s[10:11]
	v_add_f64 v[88:89], v[90:91], v[88:89]
	v_fma_f64 v[90:91], s[46:47], v[18:19], v[204:205]
	v_accvgpr_write_b32 a4, v208
	v_accvgpr_write_b32 a3, v209
	v_mul_f64 v[208:209], v[104:105], s[42:43]
	v_accvgpr_write_b32 a6, v210
	v_add_f64 v[88:89], v[90:91], v[88:89]
	v_fma_f64 v[90:91], s[26:27], v[132:133], v[208:209]
	v_accvgpr_write_b32 a7, v211
	v_accvgpr_write_b32 a8, v212
	;; [unrolled: 1-line block ×3, first 2 shown]
	v_mul_f64 v[210:211], v[106:107], s[50:51]
	v_add_f64 v[90:91], v[20:21], v[90:91]
	v_fma_f64 v[212:213], s[0:1], v[140:141], v[210:211]
	v_add_f64 v[90:91], v[212:213], v[90:91]
	v_mul_f64 v[212:213], v[114:115], s[40:41]
	v_accvgpr_write_b32 a10, v214
	v_accvgpr_write_b32 a11, v215
	;; [unrolled: 1-line block ×4, first 2 shown]
	v_fma_f64 v[214:215], s[22:23], v[150:151], v[212:213]
	v_fmac_f64_e32 v[92:93], s[42:43], v[108:109]
	v_add_f64 v[90:91], v[214:215], v[90:91]
	v_mul_f64 v[214:215], v[118:119], s[54:55]
	v_fmac_f64_e32 v[94:95], s[50:51], v[110:111]
	v_add_f64 v[92:93], v[22:23], v[92:93]
	v_fma_f64 v[216:217], s[16:17], v[156:157], v[214:215]
	v_add_f64 v[92:93], v[94:95], v[92:93]
	v_fmac_f64_e32 v[96:97], s[40:41], v[112:113]
	v_add_f64 v[90:91], v[216:217], v[90:91]
	v_mul_f64 v[216:217], v[234:235], s[38:39]
	v_accvgpr_write_b32 a14, v218
	v_add_f64 v[92:93], v[96:97], v[92:93]
	v_fma_f64 v[96:97], v[132:133], s[26:27], -v[208:209]
	v_accvgpr_write_b32 a15, v219
	v_accvgpr_write_b32 a16, v220
	;; [unrolled: 1-line block ×3, first 2 shown]
	v_fma_f64 v[218:219], s[18:19], v[162:163], v[216:217]
	v_fma_f64 v[94:95], v[140:141], s[0:1], -v[210:211]
	v_add_f64 v[96:97], v[20:21], v[96:97]
	v_add_f64 v[90:91], v[218:219], v[90:91]
	v_mul_f64 v[218:219], v[6:7], s[48:49]
	v_fmac_f64_e32 v[98:99], s[54:55], v[116:117]
	v_add_f64 v[94:95], v[94:95], v[96:97]
	v_fma_f64 v[96:97], v[150:151], s[22:23], -v[212:213]
	v_accvgpr_write_b32 a2, v206
	v_accvgpr_write_b32 a5, v207
	v_fma_f64 v[206:207], s[6:7], v[168:169], v[218:219]
	v_add_f64 v[92:93], v[98:99], v[92:93]
	v_fmac_f64_e32 v[100:101], s[38:39], v[222:223]
	v_add_f64 v[94:95], v[96:97], v[94:95]
	v_fma_f64 v[96:97], v[156:157], s[16:17], -v[214:215]
	v_add_f64 v[90:91], v[206:207], v[90:91]
	v_mul_f64 v[206:207], v[192:193], s[36:37]
	v_accvgpr_write_b32 a18, v224
	v_add_f64 v[92:93], v[100:101], v[92:93]
	v_fmac_f64_e32 v[102:103], s[48:49], v[184:185]
	v_add_f64 v[94:95], v[96:97], v[94:95]
	v_fma_f64 v[96:97], v[162:163], s[18:19], -v[216:217]
	v_fma_f64 v[220:221], s[10:11], v[174:175], v[206:207]
	v_accvgpr_write_b32 a19, v225
	v_accvgpr_write_b32 a20, v226
	;; [unrolled: 1-line block ×3, first 2 shown]
	v_mul_f64 v[224:225], v[196:197], s[14:15]
	v_add_f64 v[92:93], v[102:103], v[92:93]
	v_fmac_f64_e32 v[204:205], s[36:37], v[18:19]
	v_add_f64 v[94:95], v[96:97], v[94:95]
	v_fma_f64 v[96:97], v[168:169], s[6:7], -v[218:219]
	v_add_f64 v[220:221], v[220:221], v[90:91]
	v_fma_f64 v[90:91], s[34:35], v[252:253], v[224:225]
	v_mul_f64 v[226:227], v[254:255], s[56:57]
	v_add_f64 v[92:93], v[204:205], v[92:93]
	v_add_f64 v[94:95], v[96:97], v[94:95]
	v_fma_f64 v[96:97], v[174:175], s[10:11], -v[206:207]
	v_fmac_f64_e32 v[224:225], s[56:57], v[252:253]
	v_add_f64 v[96:97], v[96:97], v[94:95]
	v_add_f64 v[94:95], v[224:225], v[92:93]
	v_fma_f64 v[92:93], v[190:191], s[14:15], -v[226:227]
	v_mul_f64 v[100:101], v[134:135], s[22:23]
	v_add_f64 v[92:93], v[92:93], v[96:97]
	v_fma_f64 v[96:97], s[44:45], v[108:109], v[100:101]
	v_mul_f64 v[102:103], v[144:145], s[6:7]
	v_add_f64 v[96:97], v[22:23], v[96:97]
	v_fma_f64 v[98:99], s[28:29], v[110:111], v[102:103]
	;; [unrolled: 3-line block ×9, first 2 shown]
	v_add_f64 v[90:91], v[90:91], v[88:89]
	v_fma_f64 v[88:89], s[14:15], v[190:191], v[226:227]
	v_add_f64 v[98:99], v[218:219], v[98:99]
	v_mul_f64 v[218:219], v[114:115], s[34:35]
	v_add_f64 v[88:89], v[88:89], v[220:221]
	v_fma_f64 v[220:221], s[14:15], v[150:151], v[218:219]
	v_add_f64 v[98:99], v[220:221], v[98:99]
	v_mul_f64 v[220:221], v[118:119], s[58:59]
	v_fma_f64 v[224:225], s[18:19], v[156:157], v[220:221]
	v_add_f64 v[98:99], v[224:225], v[98:99]
	v_mul_f64 v[224:225], v[234:235], s[20:21]
	v_fma_f64 v[226:227], s[0:1], v[162:163], v[224:225]
	v_accvgpr_write_b32 a97, v91
	v_add_f64 v[98:99], v[226:227], v[98:99]
	v_mul_f64 v[226:227], v[6:7], s[42:43]
	v_accvgpr_write_b32 a96, v90
	v_accvgpr_write_b32 a95, v89
	;; [unrolled: 1-line block ×3, first 2 shown]
	v_fma_f64 v[88:89], s[26:27], v[168:169], v[226:227]
	v_mul_f64 v[90:91], v[192:193], s[54:55]
	v_accvgpr_write_b32 a22, v236
	v_add_f64 v[88:89], v[88:89], v[98:99]
	v_fma_f64 v[98:99], s[16:17], v[174:175], v[90:91]
	v_accvgpr_write_b32 a23, v237
	v_accvgpr_write_b32 a24, v238
	;; [unrolled: 1-line block ×3, first 2 shown]
	v_mul_f64 v[236:237], v[196:197], s[10:11]
	v_add_f64 v[88:89], v[98:99], v[88:89]
	v_fma_f64 v[98:99], s[46:47], v[252:253], v[236:237]
	v_mul_f64 v[238:239], v[254:255], s[36:37]
	v_add_f64 v[98:99], v[98:99], v[96:97]
	v_fma_f64 v[96:97], s[10:11], v[190:191], v[238:239]
	v_fmac_f64_e32 v[100:101], s[40:41], v[108:109]
	v_add_f64 v[96:97], v[96:97], v[88:89]
	v_fmac_f64_e32 v[102:103], s[48:49], v[110:111]
	v_add_f64 v[88:89], v[22:23], v[100:101]
	v_add_f64 v[88:89], v[102:103], v[88:89]
	v_fma_f64 v[102:103], v[132:133], s[22:23], -v[214:215]
	v_fmac_f64_e32 v[204:205], s[34:35], v[112:113]
	v_fma_f64 v[100:101], v[140:141], s[6:7], -v[216:217]
	v_add_f64 v[102:103], v[20:21], v[102:103]
	v_add_f64 v[88:89], v[204:205], v[88:89]
	v_fmac_f64_e32 v[206:207], s[58:59], v[116:117]
	v_add_f64 v[100:101], v[100:101], v[102:103]
	v_fma_f64 v[102:103], v[150:151], s[14:15], -v[218:219]
	v_add_f64 v[88:89], v[206:207], v[88:89]
	v_fmac_f64_e32 v[208:209], s[20:21], v[222:223]
	v_add_f64 v[100:101], v[102:103], v[100:101]
	v_fma_f64 v[102:103], v[156:157], s[18:19], -v[220:221]
	;; [unrolled: 4-line block ×4, first 2 shown]
	v_add_f64 v[88:89], v[212:213], v[88:89]
	v_add_f64 v[100:101], v[102:103], v[100:101]
	v_fma_f64 v[90:91], v[174:175], s[16:17], -v[90:91]
	v_fmac_f64_e32 v[236:237], s[36:37], v[252:253]
	v_add_f64 v[90:91], v[90:91], v[100:101]
	v_add_f64 v[102:103], v[236:237], v[88:89]
	v_fma_f64 v[88:89], v[190:191], s[10:11], -v[238:239]
	v_add_f64 v[100:101], v[88:89], v[90:91]
	v_mul_f64 v[88:89], v[134:135], s[18:19]
	v_fma_f64 v[90:91], s[58:59], v[108:109], v[88:89]
	v_mul_f64 v[204:205], v[144:145], s[10:11]
	v_add_f64 v[90:91], v[22:23], v[90:91]
	v_fma_f64 v[206:207], s[36:37], v[110:111], v[204:205]
	v_add_f64 v[90:91], v[206:207], v[90:91]
	v_mul_f64 v[206:207], v[152:153], s[0:1]
	v_fma_f64 v[208:209], s[50:51], v[112:113], v[206:207]
	v_add_f64 v[90:91], v[208:209], v[90:91]
	v_mul_f64 v[208:209], v[158:159], s[22:23]
	;; [unrolled: 3-line block ×5, first 2 shown]
	v_fma_f64 v[216:217], s[52:53], v[18:19], v[214:215]
	v_mul_f64 v[218:219], v[104:105], s[38:39]
	v_add_f64 v[90:91], v[216:217], v[90:91]
	v_mul_f64 v[216:217], v[106:107], s[46:47]
	v_fma_f64 v[104:105], s[18:19], v[132:133], v[218:219]
	v_add_f64 v[104:105], v[20:21], v[104:105]
	v_fma_f64 v[106:107], s[10:11], v[140:141], v[216:217]
	v_mul_f64 v[114:115], v[114:115], s[20:21]
	v_fmac_f64_e32 v[88:89], s[38:39], v[108:109]
	v_add_f64 v[104:105], v[106:107], v[104:105]
	v_fma_f64 v[106:107], s[0:1], v[150:151], v[114:115]
	v_mul_f64 v[118:119], v[118:119], s[40:41]
	v_fmac_f64_e32 v[214:215], s[42:43], v[18:19]
	v_fmac_f64_e32 v[204:205], s[46:47], v[110:111]
	v_add_f64 v[18:19], v[22:23], v[88:89]
	v_add_f64 v[104:105], v[106:107], v[104:105]
	v_fma_f64 v[106:107], s[22:23], v[156:157], v[118:119]
	v_mul_f64 v[220:221], v[234:235], s[56:57]
	v_fmac_f64_e32 v[206:207], s[20:21], v[112:113]
	v_add_f64 v[18:19], v[204:205], v[18:19]
	v_fma_f64 v[108:109], v[132:133], s[18:19], -v[218:219]
	v_add_f64 v[104:105], v[106:107], v[104:105]
	v_fma_f64 v[106:107], s[14:15], v[162:163], v[220:221]
	v_mul_f64 v[6:7], v[6:7], s[24:25]
	v_fmac_f64_e32 v[208:209], s[40:41], v[116:117]
	v_add_f64 v[18:19], v[206:207], v[18:19]
	v_fma_f64 v[88:89], v[140:141], s[10:11], -v[216:217]
	v_add_f64 v[108:109], v[20:21], v[108:109]
	v_mul_f64 v[112:113], v[158:159], s[6:7]
	v_add_f64 v[104:105], v[106:107], v[104:105]
	v_fma_f64 v[106:107], s[16:17], v[168:169], v[6:7]
	v_mul_f64 v[192:193], v[192:193], s[42:43]
	v_fmac_f64_e32 v[210:211], s[56:57], v[222:223]
	v_add_f64 v[18:19], v[208:209], v[18:19]
	v_add_f64 v[88:89], v[88:89], v[108:109]
	v_fma_f64 v[108:109], v[150:151], s[0:1], -v[114:115]
	v_add_f64 v[14:15], v[14:15], v[112:113]
	v_mul_f64 v[112:113], v[152:153], s[16:17]
	v_mul_f64 v[114:115], v[134:135], s[10:11]
	v_add_f64 v[104:105], v[106:107], v[104:105]
	v_fma_f64 v[106:107], s[26:27], v[174:175], v[192:193]
	v_mul_f64 v[224:225], v[196:197], s[6:7]
	v_fmac_f64_e32 v[212:213], s[24:25], v[184:185]
	v_add_f64 v[18:19], v[210:211], v[18:19]
	v_add_f64 v[88:89], v[108:109], v[88:89]
	v_fma_f64 v[108:109], v[156:157], s[22:23], -v[118:119]
	v_add_f64 v[0:1], v[0:1], v[112:113]
	v_mul_f64 v[112:113], v[144:145], s[22:23]
	v_add_f64 v[114:115], v[170:171], v[114:115]
	v_add_f64 v[104:105], v[106:107], v[104:105]
	v_fma_f64 v[106:107], s[28:29], v[252:253], v[224:225]
	v_add_f64 v[18:19], v[212:213], v[18:19]
	v_add_f64 v[88:89], v[108:109], v[88:89]
	v_fma_f64 v[108:109], v[162:163], s[14:15], -v[220:221]
	v_add_f64 v[112:113], v[180:181], v[112:113]
	v_add_f64 v[114:115], v[22:23], v[114:115]
	v_add_f64 v[106:107], v[106:107], v[90:91]
	v_mul_f64 v[90:91], v[254:255], s[48:49]
	v_fmac_f64_e32 v[224:225], s[48:49], v[252:253]
	v_add_f64 v[18:19], v[214:215], v[18:19]
	v_add_f64 v[88:89], v[108:109], v[88:89]
	v_fma_f64 v[6:7], v[168:169], s[16:17], -v[6:7]
	v_add_f64 v[112:113], v[112:113], v[114:115]
	v_mul_f64 v[116:117], v[132:133], s[10:11]
	v_fma_f64 v[226:227], s[6:7], v[190:191], v[90:91]
	v_add_f64 v[6:7], v[6:7], v[88:89]
	v_fma_f64 v[88:89], v[174:175], s[26:27], -v[192:193]
	v_add_f64 v[110:111], v[224:225], v[18:19]
	v_fma_f64 v[18:19], v[190:191], s[6:7], -v[90:91]
	v_mul_f64 v[90:91], v[166:167], s[26:27]
	v_add_f64 v[0:1], v[0:1], v[112:113]
	v_mul_f64 v[114:115], v[140:141], s[22:23]
	v_add_f64 v[116:117], v[116:117], -v[148:149]
	v_add_f64 v[6:7], v[88:89], v[6:7]
	v_mul_f64 v[88:89], v[172:173], s[14:15]
	v_add_f64 v[90:91], v[194:195], v[90:91]
	v_add_f64 v[0:1], v[14:15], v[0:1]
	v_mul_f64 v[112:113], v[150:151], s[16:17]
	v_add_f64 v[114:115], v[114:115], -v[154:155]
	v_add_f64 v[116:117], v[20:21], v[116:117]
	v_add_f64 v[108:109], v[18:19], v[6:7]
	v_mul_f64 v[18:19], v[178:179], s[0:1]
	v_add_f64 v[88:89], v[198:199], v[88:89]
	v_add_f64 v[0:1], v[90:91], v[0:1]
	v_mul_f64 v[90:91], v[156:157], s[6:7]
	v_add_f64 v[112:113], v[112:113], -v[160:161]
	v_add_f64 v[114:115], v[114:115], v[116:117]
	v_add_f64 v[18:19], v[200:201], v[18:19]
	;; [unrolled: 1-line block ×3, first 2 shown]
	v_mul_f64 v[88:89], v[162:163], s[26:27]
	v_add_f64 v[90:91], v[90:91], -v[164:165]
	v_add_f64 v[112:113], v[112:113], v[114:115]
	v_add_f64 v[0:1], v[18:19], v[0:1]
	v_mul_f64 v[18:19], v[174:175], s[0:1]
	v_add_f64 v[88:89], v[88:89], -v[176:177]
	v_add_f64 v[90:91], v[90:91], v[112:113]
	v_add_f64 v[2:3], v[18:19], -v[2:3]
	v_mul_f64 v[18:19], v[168:169], s[14:15]
	v_add_f64 v[88:89], v[88:89], v[90:91]
	v_mul_f64 v[90:91], v[144:145], s[26:27]
	v_mul_f64 v[116:117], v[134:135], s[14:15]
	v_add_f64 v[18:19], v[18:19], -v[182:183]
	v_add_f64 v[90:91], v[120:121], v[90:91]
	v_add_f64 v[116:117], v[248:249], v[116:117]
	v_mul_f64 v[120:121], v[132:133], s[14:15]
	v_mul_f64 v[14:15], v[190:191], s[18:19]
	v_add_f64 v[18:19], v[18:19], v[88:89]
	v_mul_f64 v[88:89], v[152:153], s[10:11]
	v_add_f64 v[116:117], v[22:23], v[116:117]
	v_mul_f64 v[118:119], v[140:141], s[26:27]
	v_add_f64 v[120:121], v[120:121], -v[228:229]
	v_mul_f64 v[6:7], v[196:197], s[18:19]
	v_add_f64 v[14:15], v[14:15], -v[188:189]
	v_add_f64 v[2:3], v[2:3], v[18:19]
	v_mul_f64 v[18:19], v[158:159], s[0:1]
	v_add_f64 v[88:89], v[124:125], v[88:89]
	v_add_f64 v[90:91], v[90:91], v[116:117]
	v_mul_f64 v[116:117], v[150:151], s[10:11]
	v_add_f64 v[118:119], v[118:119], -v[230:231]
	v_add_f64 v[120:121], v[20:21], v[120:121]
	v_add_f64 v[6:7], v[202:203], v[6:7]
	;; [unrolled: 1-line block ×3, first 2 shown]
	v_mul_f64 v[14:15], v[166:167], s[6:7]
	v_add_f64 v[18:19], v[128:129], v[18:19]
	v_add_f64 v[88:89], v[88:89], v[90:91]
	v_mul_f64 v[90:91], v[156:157], s[0:1]
	v_add_f64 v[116:117], v[116:117], -v[244:245]
	v_add_f64 v[118:119], v[118:119], v[120:121]
	v_add_f64 v[114:115], v[6:7], v[0:1]
	v_mul_f64 v[6:7], v[172:173], s[22:23]
	v_add_f64 v[14:15], v[136:137], v[14:15]
	v_add_f64 v[18:19], v[18:19], v[88:89]
	v_mul_f64 v[88:89], v[162:163], s[6:7]
	v_add_f64 v[90:91], v[90:91], -v[246:247]
	v_add_f64 v[116:117], v[116:117], v[118:119]
	v_mul_f64 v[2:3], v[178:179], s[18:19]
	v_add_f64 v[6:7], v[138:139], v[6:7]
	v_add_f64 v[14:15], v[14:15], v[18:19]
	v_mul_f64 v[18:19], v[168:169], s[22:23]
	v_add_f64 v[88:89], v[88:89], -v[250:251]
	;; [unrolled: 6-line block ×3, first 2 shown]
	v_add_f64 v[88:89], v[88:89], v[90:91]
	v_add_f64 v[0:1], v[146:147], v[0:1]
	;; [unrolled: 1-line block ×3, first 2 shown]
	v_mul_f64 v[6:7], v[190:191], s[16:17]
	v_add_f64 v[14:15], v[14:15], -v[126:127]
	v_add_f64 v[18:19], v[18:19], v[88:89]
	v_add_f64 v[6:7], v[6:7], -v[130:131]
	v_add_f64 v[14:15], v[14:15], v[18:19]
	v_add_f64 v[118:119], v[0:1], v[2:3]
	v_mul_f64 v[0:1], v[196:197], s[22:23]
	v_add_f64 v[116:117], v[6:7], v[14:15]
	v_add_f64 v[0:1], v[16:17], v[0:1]
	v_mul_f64 v[6:7], v[172:173], s[0:1]
	v_accvgpr_read_b32 v16, a92
	v_mul_f64 v[2:3], v[178:179], s[14:15]
	v_add_f64 v[6:7], v[10:11], v[6:7]
	v_mul_f64 v[10:11], v[166:167], s[16:17]
	v_mul_f64 v[14:15], v[134:135], s[6:7]
	v_accvgpr_read_b32 v17, a93
	v_add_f64 v[2:3], v[12:13], v[2:3]
	v_add_f64 v[8:9], v[8:9], v[10:11]
	v_mul_f64 v[10:11], v[158:159], s[10:11]
	v_mul_f64 v[12:13], v[144:145], s[18:19]
	v_add_f64 v[14:15], v[16:17], v[14:15]
	v_add_f64 v[4:5], v[4:5], v[10:11]
	v_mul_f64 v[10:11], v[152:153], s[26:27]
	v_add_f64 v[12:13], v[232:233], v[12:13]
	v_add_f64 v[14:15], v[22:23], v[14:15]
	;; [unrolled: 1-line block ×4, first 2 shown]
	v_accvgpr_read_b32 v121, a91
	v_add_f64 v[10:11], v[10:11], v[12:13]
	v_mul_f64 v[90:91], v[168:169], s[0:1]
	v_accvgpr_read_b32 v120, a90
	v_accvgpr_read_b32 v123, a89
	v_mul_f64 v[14:15], v[132:133], s[0:1]
	v_add_f64 v[4:5], v[4:5], v[10:11]
	v_mul_f64 v[10:11], v[132:133], s[16:17]
	v_mul_f64 v[18:19], v[132:133], s[6:7]
	v_add_f64 v[90:91], v[90:91], -v[120:121]
	v_mul_f64 v[120:121], v[162:163], s[16:17]
	v_accvgpr_read_b32 v122, a88
	v_accvgpr_read_b32 v125, a87
	;; [unrolled: 1-line block ×3, first 2 shown]
	v_add_f64 v[120:121], v[120:121], -v[122:123]
	v_mul_f64 v[122:123], v[156:157], s[10:11]
	v_accvgpr_read_b32 v124, a86
	v_mul_f64 v[130:131], v[140:141], s[18:19]
	v_accvgpr_read_b32 v132, a82
	v_accvgpr_read_b32 v165, a75
	v_add_f64 v[122:123], v[122:123], -v[124:125]
	v_mul_f64 v[124:125], v[150:151], s[26:27]
	v_add_f64 v[130:131], v[130:131], -v[132:133]
	v_mul_f64 v[132:133], v[150:151], s[6:7]
	v_mul_f64 v[136:137], v[150:151], s[18:19]
	;; [unrolled: 1-line block ×3, first 2 shown]
	v_accvgpr_read_b32 v164, a74
	v_add_f64 v[150:151], v[164:165], v[150:151]
	v_accvgpr_read_b32 v165, a71
	v_mul_f64 v[146:147], v[166:167], s[22:23]
	v_accvgpr_read_b32 v164, a70
	v_add_f64 v[146:147], v[164:165], v[146:147]
	v_accvgpr_read_b32 v165, a67
	v_mul_f64 v[142:143], v[158:159], s[26:27]
	;; [unrolled: 4-line block ×5, first 2 shown]
	v_accvgpr_read_b32 v164, a56
	v_add_f64 v[16:17], v[164:165], v[16:17]
	v_add_f64 v[16:17], v[22:23], v[16:17]
	;; [unrolled: 1-line block ×3, first 2 shown]
	v_accvgpr_read_b32 v127, a85
	v_add_f64 v[16:17], v[138:139], v[16:17]
	v_accvgpr_read_b32 v126, a84
	v_add_f64 v[16:17], v[142:143], v[16:17]
	;; [unrolled: 2-line block ×3, first 2 shown]
	v_mul_f64 v[8:9], v[140:141], s[16:17]
	v_add_f64 v[124:125], v[124:125], -v[126:127]
	v_mul_f64 v[126:127], v[140:141], s[14:15]
	v_mul_f64 v[140:141], v[156:157], s[26:27]
	v_accvgpr_read_b32 v142, a54
	v_add_f64 v[140:141], v[140:141], -v[142:143]
	v_accvgpr_read_b32 v143, a53
	v_accvgpr_read_b32 v142, a52
	v_add_f64 v[136:137], v[136:137], -v[142:143]
	v_accvgpr_read_b32 v143, a51
	v_mul_f64 v[12:13], v[134:135], s[0:1]
	v_accvgpr_read_b32 v135, a81
	v_accvgpr_read_b32 v142, a50
	;; [unrolled: 1-line block ×3, first 2 shown]
	v_add_f64 v[126:127], v[126:127], -v[142:143]
	v_accvgpr_read_b32 v143, a49
	v_add_f64 v[18:19], v[18:19], -v[134:135]
	v_accvgpr_read_b32 v142, a48
	v_add_f64 v[18:19], v[20:21], v[18:19]
	v_add_f64 v[10:11], v[10:11], -v[142:143]
	v_add_f64 v[18:19], v[130:131], v[18:19]
	v_add_f64 v[10:11], v[20:21], v[10:11]
	v_add_f64 v[18:19], v[124:125], v[18:19]
	v_accvgpr_read_b32 v139, a61
	v_add_f64 v[10:11], v[126:127], v[10:11]
	v_mul_f64 v[88:89], v[144:145], s[16:17]
	v_add_f64 v[18:19], v[122:123], v[18:19]
	v_mul_f64 v[144:145], v[162:163], s[22:23]
	v_accvgpr_read_b32 v129, a65
	v_accvgpr_read_b32 v138, a60
	v_add_f64 v[10:11], v[136:137], v[10:11]
	v_add_f64 v[4:5], v[6:7], v[4:5]
	v_mul_f64 v[6:7], v[174:175], s[14:15]
	v_add_f64 v[18:19], v[120:121], v[18:19]
	v_mul_f64 v[148:149], v[168:169], s[10:11]
	v_accvgpr_read_b32 v128, a64
	v_add_f64 v[138:139], v[144:145], -v[138:139]
	v_add_f64 v[10:11], v[140:141], v[10:11]
	v_add_f64 v[6:7], v[6:7], -v[240:241]
	v_add_f64 v[18:19], v[90:91], v[18:19]
	;; [unrolled: 2-line block ×3, first 2 shown]
	v_accvgpr_read_b32 v127, a39
	v_add_f64 v[6:7], v[6:7], v[18:19]
	v_mul_f64 v[18:19], v[172:173], s[18:19]
	v_add_f64 v[10:11], v[128:129], v[10:11]
	v_accvgpr_read_b32 v126, a38
	v_accvgpr_read_b32 v129, a107
	v_add_f64 v[18:19], v[126:127], v[18:19]
	v_accvgpr_read_b32 v127, a35
	v_accvgpr_read_b32 v128, a106
	v_mul_f64 v[120:121], v[166:167], s[10:11]
	v_accvgpr_read_b32 v126, a34
	v_add_f64 v[88:89], v[128:129], v[88:89]
	v_accvgpr_read_b32 v129, a105
	v_add_f64 v[120:121], v[126:127], v[120:121]
	v_accvgpr_read_b32 v127, a31
	v_accvgpr_read_b32 v128, a104
	v_add_f64 v[2:3], v[2:3], v[4:5]
	v_mul_f64 v[4:5], v[190:191], s[22:23]
	v_mul_f64 v[124:125], v[158:159], s[14:15]
	v_accvgpr_read_b32 v126, a30
	v_add_f64 v[12:13], v[128:129], v[12:13]
	v_add_f64 v[4:5], v[4:5], -v[186:187]
	v_add_f64 v[124:125], v[126:127], v[124:125]
	v_accvgpr_read_b32 v127, a27
	v_add_f64 v[12:13], v[22:23], v[12:13]
	v_mul_f64 v[134:135], v[152:153], s[6:7]
	v_add_f64 v[2:3], v[0:1], v[2:3]
	v_add_f64 v[0:1], v[4:5], v[6:7]
	v_accvgpr_read_b32 v6, a78
	v_accvgpr_read_b32 v126, a26
	v_add_f64 v[12:13], v[88:89], v[12:13]
	v_accvgpr_read_b32 v89, a33
	v_mul_f64 v[122:123], v[162:163], s[10:11]
	v_mul_f64 v[4:5], v[196:197], s[0:1]
	v_accvgpr_read_b32 v7, a79
	v_accvgpr_read_b32 v159, a77
	v_add_f64 v[126:127], v[126:127], v[134:135]
	v_accvgpr_read_b32 v88, a32
	v_add_f64 v[4:5], v[6:7], v[4:5]
	v_mul_f64 v[6:7], v[178:179], s[6:7]
	v_accvgpr_read_b32 v158, a76
	v_add_f64 v[16:17], v[146:147], v[16:17]
	v_add_f64 v[12:13], v[126:127], v[12:13]
	v_add_f64 v[88:89], v[122:123], -v[88:89]
	v_accvgpr_read_b32 v123, a101
	v_add_f64 v[6:7], v[158:159], v[6:7]
	v_add_f64 v[16:17], v[150:151], v[16:17]
	;; [unrolled: 1-line block ×3, first 2 shown]
	v_accvgpr_read_b32 v122, a100
	v_add_f64 v[6:7], v[6:7], v[16:17]
	v_accvgpr_read_b32 v16, a68
	v_add_f64 v[12:13], v[120:121], v[12:13]
	v_add_f64 v[8:9], v[8:9], -v[122:123]
	v_accvgpr_read_b32 v123, a99
	v_mul_f64 v[130:131], v[156:157], s[14:15]
	v_mul_f64 v[156:157], v[174:175], s[6:7]
	v_add_f64 v[6:7], v[4:5], v[6:7]
	v_accvgpr_read_b32 v4, a72
	v_accvgpr_read_b32 v17, a69
	v_add_f64 v[12:13], v[18:19], v[12:13]
	v_accvgpr_read_b32 v18, a36
	v_accvgpr_read_b32 v122, a98
	v_mul_f64 v[90:91], v[168:169], s[18:19]
	v_mul_f64 v[162:163], v[190:191], s[0:1]
	v_accvgpr_read_b32 v5, a73
	v_add_f64 v[16:17], v[156:157], -v[16:17]
	v_accvgpr_read_b32 v19, a37
	v_accvgpr_read_b32 v121, a103
	v_add_f64 v[14:15], v[14:15], -v[122:123]
	v_add_f64 v[4:5], v[162:163], -v[4:5]
	v_add_f64 v[10:11], v[16:17], v[10:11]
	v_accvgpr_read_b32 v16, a42
	v_add_f64 v[18:19], v[90:91], -v[18:19]
	v_accvgpr_read_b32 v91, a29
	v_accvgpr_read_b32 v120, a102
	v_add_f64 v[14:15], v[20:21], v[14:15]
	v_mul_f64 v[154:155], v[178:179], s[22:23]
	v_add_f64 v[4:5], v[4:5], v[10:11]
	v_accvgpr_read_b32 v10, a46
	v_accvgpr_read_b32 v17, a43
	;; [unrolled: 1-line block ×3, first 2 shown]
	v_add_f64 v[120:121], v[132:133], -v[120:121]
	v_add_f64 v[8:9], v[8:9], v[14:15]
	v_mul_f64 v[160:161], v[196:197], s[26:27]
	v_accvgpr_read_b32 v11, a47
	v_add_f64 v[16:17], v[16:17], v[154:155]
	v_add_f64 v[90:91], v[130:131], -v[90:91]
	v_add_f64 v[8:9], v[120:121], v[8:9]
	v_add_f64 v[10:11], v[10:11], v[160:161]
	;; [unrolled: 1-line block ×3, first 2 shown]
	v_accvgpr_read_b32 v16, a40
	v_add_f64 v[8:9], v[90:91], v[8:9]
	v_mul_f64 v[152:153], v[174:175], s[22:23]
	v_add_f64 v[10:11], v[10:11], v[12:13]
	v_accvgpr_read_b32 v12, a44
	v_accvgpr_read_b32 v17, a41
	v_add_f64 v[8:9], v[88:89], v[8:9]
	v_mul_f64 v[158:159], v[190:191], s[26:27]
	v_accvgpr_read_b32 v13, a45
	v_add_f64 v[16:17], v[152:153], -v[16:17]
	v_add_f64 v[8:9], v[18:19], v[8:9]
	v_add_f64 v[12:13], v[158:159], -v[12:13]
	v_add_f64 v[8:9], v[16:17], v[8:9]
	v_add_f64 v[8:9], v[12:13], v[8:9]
	;; [unrolled: 1-line block ×30, first 2 shown]
	v_accvgpr_read_b32 v205, a1
	v_add_f64 v[12:13], v[72:73], v[12:13]
	v_accvgpr_read_b32 v204, a0
	v_add_f64 v[12:13], v[76:77], v[12:13]
	;; [unrolled: 2-line block ×3, first 2 shown]
	v_accvgpr_read_b32 v207, a5
	v_accvgpr_read_b32 v213, a9
	;; [unrolled: 1-line block ×5, first 2 shown]
	v_add_f64 v[12:13], v[80:81], v[12:13]
	v_mul_lo_u16_e32 v16, 17, v204
	v_accvgpr_read_b32 v238, a24
	v_accvgpr_read_b32 v237, a23
	;; [unrolled: 1-line block ×18, first 2 shown]
	v_add_f64 v[12:13], v[84:85], v[12:13]
	v_add_lshl_u32 v16, v207, v16, 4
	ds_write_b128 v16, v[12:15]
	ds_write_b128 v16, v[8:11] offset:16
	ds_write_b128 v16, v[4:7] offset:32
	;; [unrolled: 1-line block ×16, first 2 shown]
.LBB0_7:
	s_or_b64 exec, exec, s[30:31]
	s_mov_b64 s[0:1], 0xcc
	v_lshl_add_u64 v[0:1], v[204:205], 0, s[0:1]
	s_mov_b64 s[0:1], 0x132
	v_lshl_add_u64 v[2:3], v[204:205], 0, s[0:1]
	s_movk_i32 s0, 0xf1
	v_mul_lo_u16_sdwa v1, v204, s0 dst_sel:DWORD dst_unused:UNUSED_PAD src0_sel:BYTE_0 src1_sel:DWORD
	v_lshrrev_b16_e32 v24, 12, v1
	v_mul_lo_u16_e32 v1, 17, v24
	v_sub_u16_e32 v25, v204, v1
	v_mov_b32_e32 v3, 5
	v_lshlrev_b32_sdwa v1, v3, v25 dst_sel:DWORD dst_unused:UNUSED_PAD src0_sel:DWORD src1_sel:BYTE_0
	s_load_dwordx4 s[4:7], s[4:5], 0x0
	s_waitcnt lgkmcnt(0)
	s_barrier
	global_load_dwordx4 v[32:35], v1, s[2:3] offset:16
	global_load_dwordx4 v[36:39], v1, s[2:3]
	v_add_u16_e32 v1, 0x66, v204
	v_mul_lo_u16_sdwa v4, v1, s0 dst_sel:DWORD dst_unused:UNUSED_PAD src0_sel:BYTE_0 src1_sel:DWORD
	v_lshrrev_b16_e32 v26, 12, v4
	v_mul_lo_u16_e32 v4, 17, v26
	v_sub_u16_e32 v27, v1, v4
	v_lshlrev_b32_sdwa v3, v3, v27 dst_sel:DWORD dst_unused:UNUSED_PAD src0_sel:DWORD src1_sel:BYTE_0
	s_mov_b32 s0, 0xf0f1
	global_load_dwordx4 v[40:43], v3, s[2:3] offset:16
	global_load_dwordx4 v[44:47], v3, s[2:3]
	v_mul_u32_u24_sdwa v3, v0, s0 dst_sel:DWORD dst_unused:UNUSED_PAD src0_sel:WORD_0 src1_sel:DWORD
	v_lshrrev_b32_e32 v28, 20, v3
	v_mul_lo_u16_e32 v3, 17, v28
	v_sub_u16_e32 v29, v0, v3
	v_lshlrev_b16_e32 v3, 1, v29
	v_lshlrev_b32_e32 v3, 4, v3
	global_load_dwordx4 v[48:51], v3, s[2:3] offset:16
	global_load_dwordx4 v[184:187], v3, s[2:3]
	v_mul_u32_u24_sdwa v3, v2, s0 dst_sel:DWORD dst_unused:UNUSED_PAD src0_sel:WORD_0 src1_sel:DWORD
	v_lshrrev_b32_e32 v30, 20, v3
	v_mul_lo_u16_e32 v3, 17, v30
	v_sub_u16_e32 v31, v2, v3
	v_lshlrev_b16_e32 v2, 1, v31
	v_lshlrev_b32_e32 v2, 4, v2
	global_load_dwordx4 v[192:195], v2, s[2:3]
	global_load_dwordx4 v[188:191], v2, s[2:3] offset:16
	v_add_lshl_u32 v200, v207, v204, 4
	ds_read_b128 v[2:5], v200
	ds_read_b128 v[6:9], v200 offset:1632
	ds_read_b128 v[10:13], v200 offset:6528
	;; [unrolled: 1-line block ×11, first 2 shown]
	s_mov_b32 s14, 0xe8584caa
	s_mov_b32 s15, 0x3febb67a
	;; [unrolled: 1-line block ×4, first 2 shown]
	s_waitcnt lgkmcnt(0)
	s_barrier
	v_cmp_gt_u16_e64 s[0:1], 51, v204
	v_mov_b32_e32 v177, 0
	v_lshl_add_u32 v199, v204, 4, v209
	v_lshl_add_u32 v201, v204, 4, v209
	s_waitcnt vmcnt(7)
	v_mul_f64 v[82:83], v[20:21], v[34:35]
	s_waitcnt vmcnt(6)
	v_mul_f64 v[22:23], v[12:13], v[38:39]
	v_mul_f64 v[80:81], v[10:11], v[38:39]
	;; [unrolled: 1-line block ×3, first 2 shown]
	v_fma_f64 v[22:23], v[10:11], v[36:37], -v[22:23]
	v_fmac_f64_e32 v[80:81], v[12:13], v[36:37]
	v_fma_f64 v[18:19], v[18:19], v[32:33], -v[82:83]
	v_fmac_f64_e32 v[84:85], v[20:21], v[32:33]
	s_waitcnt vmcnt(5)
	v_mul_f64 v[90:91], v[58:59], v[42:43]
	s_waitcnt vmcnt(4)
	v_mul_f64 v[88:89], v[14:15], v[46:47]
	v_mul_f64 v[86:87], v[16:17], v[46:47]
	v_fmac_f64_e32 v[88:89], v[16:17], v[44:45]
	v_mul_f64 v[92:93], v[56:57], v[42:43]
	v_fma_f64 v[82:83], v[14:15], v[44:45], -v[86:87]
	v_fma_f64 v[86:87], v[56:57], v[40:41], -v[90:91]
	s_waitcnt vmcnt(3)
	v_mul_f64 v[12:13], v[74:75], v[50:51]
	v_mul_f64 v[94:95], v[72:73], v[50:51]
	v_fma_f64 v[72:73], v[72:73], v[48:49], -v[12:13]
	v_add_f64 v[12:13], v[22:23], v[18:19]
	s_waitcnt vmcnt(2)
	v_mul_f64 v[10:11], v[66:67], v[186:187]
	v_add_f64 v[20:21], v[2:3], v[22:23]
	v_fmac_f64_e32 v[2:3], -0.5, v[12:13]
	s_waitcnt vmcnt(1)
	v_mul_f64 v[14:15], v[70:71], v[194:195]
	s_waitcnt vmcnt(0)
	v_mul_f64 v[16:17], v[78:79], v[190:191]
	v_fma_f64 v[104:105], v[76:77], v[188:189], -v[16:17]
	v_add_f64 v[12:13], v[80:81], -v[84:85]
	v_add_f64 v[16:17], v[80:81], v[84:85]
	v_fmac_f64_e32 v[92:93], v[58:59], v[40:41]
	v_fma_f64 v[100:101], v[64:65], v[184:185], -v[10:11]
	v_fma_f64 v[102:103], v[68:69], v[192:193], -v[14:15]
	v_add_f64 v[10:11], v[20:21], v[18:19]
	v_fma_f64 v[14:15], s[14:15], v[12:13], v[2:3]
	v_fmac_f64_e32 v[2:3], s[10:11], v[12:13]
	v_add_f64 v[12:13], v[4:5], v[80:81]
	v_fmac_f64_e32 v[4:5], -0.5, v[16:17]
	v_add_f64 v[18:19], v[22:23], -v[18:19]
	v_add_f64 v[20:21], v[82:83], v[86:87]
	v_fma_f64 v[16:17], s[10:11], v[18:19], v[4:5]
	v_fmac_f64_e32 v[4:5], s[14:15], v[18:19]
	v_add_f64 v[18:19], v[6:7], v[82:83]
	v_fmac_f64_e32 v[6:7], -0.5, v[20:21]
	v_add_f64 v[20:21], v[88:89], -v[92:93]
	;; [unrolled: 6-line block ×3, first 2 shown]
	v_mul_f64 v[90:91], v[64:65], v[186:187]
	v_fma_f64 v[58:59], s[10:11], v[22:23], v[8:9]
	v_fmac_f64_e32 v[8:9], s[14:15], v[22:23]
	v_add_f64 v[22:23], v[60:61], v[100:101]
	v_fmac_f64_e32 v[90:91], v[66:67], v[184:185]
	v_fmac_f64_e32 v[94:95], v[74:75], v[48:49]
	v_add_f64 v[64:65], v[22:23], v[72:73]
	v_add_f64 v[22:23], v[100:101], v[72:73]
	v_fmac_f64_e32 v[60:61], -0.5, v[22:23]
	v_add_f64 v[22:23], v[90:91], -v[94:95]
	v_mul_f64 v[96:97], v[68:69], v[194:195]
	v_fma_f64 v[68:69], s[14:15], v[22:23], v[60:61]
	v_fmac_f64_e32 v[60:61], s[10:11], v[22:23]
	v_add_f64 v[22:23], v[62:63], v[90:91]
	v_add_f64 v[66:67], v[22:23], v[94:95]
	;; [unrolled: 1-line block ×3, first 2 shown]
	v_fmac_f64_e32 v[62:63], -0.5, v[22:23]
	v_add_f64 v[22:23], v[100:101], -v[72:73]
	v_mul_f64 v[98:99], v[76:77], v[190:191]
	v_fmac_f64_e32 v[96:97], v[70:71], v[192:193]
	v_fma_f64 v[70:71], s[10:11], v[22:23], v[62:63]
	v_fmac_f64_e32 v[62:63], s[14:15], v[22:23]
	v_add_f64 v[22:23], v[52:53], v[102:103]
	v_fmac_f64_e32 v[98:99], v[78:79], v[188:189]
	v_add_f64 v[72:73], v[22:23], v[104:105]
	v_add_f64 v[22:23], v[102:103], v[104:105]
	v_fmac_f64_e32 v[52:53], -0.5, v[22:23]
	v_add_f64 v[22:23], v[96:97], -v[98:99]
	v_fma_f64 v[76:77], s[14:15], v[22:23], v[52:53]
	v_fmac_f64_e32 v[52:53], s[10:11], v[22:23]
	v_add_f64 v[22:23], v[54:55], v[96:97]
	v_add_f64 v[74:75], v[22:23], v[98:99]
	;; [unrolled: 1-line block ×3, first 2 shown]
	v_fmac_f64_e32 v[54:55], -0.5, v[22:23]
	v_add_f64 v[22:23], v[102:103], -v[104:105]
	v_fma_f64 v[78:79], s[10:11], v[22:23], v[54:55]
	v_fmac_f64_e32 v[54:55], s[14:15], v[22:23]
	v_mul_u32_u24_e32 v22, 51, v24
	v_add_u32_sdwa v22, v22, v25 dst_sel:DWORD dst_unused:UNUSED_PAD src0_sel:DWORD src1_sel:BYTE_0
	v_add_f64 v[12:13], v[12:13], v[84:85]
	v_add_lshl_u32 v196, v207, v22, 4
	ds_write_b128 v196, v[10:13]
	ds_write_b128 v196, v[14:17] offset:272
	ds_write_b128 v196, v[2:5] offset:544
	v_mul_u32_u24_e32 v2, 51, v26
	v_add_u32_sdwa v2, v2, v27 dst_sel:DWORD dst_unused:UNUSED_PAD src0_sel:DWORD src1_sel:BYTE_0
	v_add_f64 v[18:19], v[18:19], v[86:87]
	v_add_f64 v[20:21], v[20:21], v[92:93]
	v_add_lshl_u32 v197, v207, v2, 4
	v_mad_legacy_u16 v2, v28, 51, v29
	ds_write_b128 v197, v[18:21]
	ds_write_b128 v197, v[56:59] offset:272
	ds_write_b128 v197, v[6:9] offset:544
	v_add_lshl_u32 v56, v207, v2, 4
	v_mad_legacy_u16 v2, v30, 51, v31
	v_add_lshl_u32 v57, v207, v2, 4
	v_subrev_u32_e32 v2, 51, v204
	v_cndmask_b32_e64 v24, v2, v204, s[0:1]
	s_movk_i32 s0, 0xa1
	v_mul_lo_u16_sdwa v4, v1, s0 dst_sel:DWORD dst_unused:UNUSED_PAD src0_sel:BYTE_0 src1_sel:DWORD
	v_lshrrev_b16_e32 v25, 13, v4
	v_mul_hi_i32_i24_e32 v3, 48, v24
	v_mul_i32_i24_e32 v2, 48, v24
	v_mul_lo_u16_e32 v4, 51, v25
	v_lshl_add_u64 v[2:3], s[2:3], 0, v[2:3]
	v_sub_u16_e32 v1, v1, v4
	ds_write_b128 v56, v[64:67]
	ds_write_b128 v56, v[68:71] offset:272
	ds_write_b128 v56, v[60:63] offset:544
	ds_write_b128 v57, v[72:75]
	ds_write_b128 v57, v[76:79] offset:272
	ds_write_b128 v57, v[52:55] offset:544
	s_waitcnt lgkmcnt(0)
	s_barrier
	global_load_dwordx4 v[62:65], v[2:3], off offset:544
	global_load_dwordx4 v[58:61], v[2:3], off offset:560
	v_and_b32_e32 v26, 0xff, v1
	global_load_dwordx4 v[66:69], v[2:3], off offset:576
	v_mad_u64_u32 v[2:3], s[0:1], v26, 48, s[2:3]
	s_mov_b32 s0, 0xa0a1
	s_nop 0
	v_mul_u32_u24_sdwa v1, v0, s0 dst_sel:DWORD dst_unused:UNUSED_PAD src0_sel:WORD_0 src1_sel:DWORD
	v_lshrrev_b32_e32 v27, 21, v1
	global_load_dwordx4 v[228:231], v[2:3], off offset:544
	global_load_dwordx4 v[70:73], v[2:3], off offset:576
	;; [unrolled: 1-line block ×3, first 2 shown]
	v_mul_lo_u16_e32 v1, 51, v27
	v_sub_u16_e32 v28, v0, v1
	v_mul_lo_u16_e32 v176, 48, v28
	v_lshl_add_u64 v[0:1], s[2:3], 0, v[176:177]
	global_load_dwordx4 v[84:87], v[0:1], off offset:544
	global_load_dwordx4 v[80:83], v[0:1], off offset:560
	;; [unrolled: 1-line block ×3, first 2 shown]
	ds_read_b128 v[2:5], v200
	ds_read_b128 v[6:9], v200 offset:1632
	ds_read_b128 v[10:13], v200 offset:9792
	;; [unrolled: 1-line block ×11, first 2 shown]
	v_cmp_lt_u16_e64 s[0:1], 50, v204
	s_waitcnt lgkmcnt(0)
	s_barrier
	s_waitcnt vmcnt(8)
	v_mul_f64 v[0:1], v[20:21], v[64:65]
	v_fma_f64 v[22:23], v[18:19], v[62:63], -v[0:1]
	v_mul_f64 v[18:19], v[18:19], v[64:65]
	s_waitcnt vmcnt(7)
	v_mul_f64 v[0:1], v[12:13], v[60:61]
	v_fmac_f64_e32 v[18:19], v[20:21], v[62:63]
	v_fma_f64 v[20:21], v[10:11], v[58:59], -v[0:1]
	v_mul_f64 v[10:11], v[10:11], v[60:61]
	s_waitcnt vmcnt(6)
	v_mul_f64 v[0:1], v[102:103], v[68:69]
	v_fmac_f64_e32 v[10:11], v[12:13], v[58:59]
	v_fma_f64 v[12:13], v[100:101], v[66:67], -v[0:1]
	v_mul_f64 v[100:101], v[100:101], v[68:69]
	v_fmac_f64_e32 v[100:101], v[102:103], v[66:67]
	s_waitcnt vmcnt(5)
	v_mul_f64 v[102:103], v[94:95], v[230:231]
	v_fma_f64 v[102:103], v[92:93], v[228:229], -v[102:103]
	v_mul_f64 v[92:93], v[92:93], v[230:231]
	v_fmac_f64_e32 v[92:93], v[94:95], v[228:229]
	s_waitcnt vmcnt(3)
	v_mul_f64 v[94:95], v[16:17], v[76:77]
	v_fma_f64 v[94:95], v[14:15], v[74:75], -v[94:95]
	v_mul_f64 v[116:117], v[14:15], v[76:77]
	v_mul_f64 v[14:15], v[110:111], v[72:73]
	v_fma_f64 v[118:119], v[108:109], v[70:71], -v[14:15]
	v_mul_f64 v[108:109], v[108:109], v[72:73]
	s_waitcnt vmcnt(2)
	v_mul_f64 v[14:15], v[98:99], v[86:87]
	v_fmac_f64_e32 v[108:109], v[110:111], v[70:71]
	v_fma_f64 v[110:111], v[96:97], v[84:85], -v[14:15]
	v_mul_f64 v[120:121], v[96:97], v[86:87]
	s_waitcnt vmcnt(1)
	v_mul_f64 v[14:15], v[106:107], v[82:83]
	v_fmac_f64_e32 v[120:121], v[98:99], v[84:85]
	v_fma_f64 v[122:123], v[104:105], v[80:81], -v[14:15]
	v_mul_f64 v[104:105], v[104:105], v[82:83]
	s_waitcnt vmcnt(0)
	v_mul_f64 v[14:15], v[114:115], v[234:235]
	v_add_f64 v[96:97], v[4:5], -v[10:11]
	v_add_f64 v[98:99], v[18:19], -v[100:101]
	v_fmac_f64_e32 v[104:105], v[106:107], v[80:81]
	v_fma_f64 v[106:107], v[112:113], v[232:233], -v[14:15]
	v_fma_f64 v[14:15], v[4:5], 2.0, -v[96:97]
	v_fma_f64 v[4:5], v[18:19], 2.0, -v[98:99]
	v_fmac_f64_e32 v[116:117], v[16:17], v[74:75]
	v_mul_f64 v[112:113], v[112:113], v[234:235]
	v_add_f64 v[20:21], v[2:3], -v[20:21]
	v_add_f64 v[16:17], v[22:23], -v[12:13]
	;; [unrolled: 1-line block ×3, first 2 shown]
	v_fmac_f64_e32 v[112:113], v[114:115], v[232:233]
	v_fma_f64 v[10:11], v[2:3], 2.0, -v[20:21]
	v_fma_f64 v[2:3], v[22:23], 2.0, -v[16:17]
	;; [unrolled: 1-line block ×3, first 2 shown]
	v_add_f64 v[14:15], v[20:21], -v[98:99]
	v_add_f64 v[16:17], v[96:97], v[16:17]
	v_add_f64 v[22:23], v[6:7], -v[94:95]
	v_add_f64 v[114:115], v[8:9], -v[116:117]
	;; [unrolled: 1-line block ×4, first 2 shown]
	v_fma_f64 v[18:19], v[20:21], 2.0, -v[14:15]
	v_fma_f64 v[20:21], v[96:97], 2.0, -v[16:17]
	;; [unrolled: 1-line block ×6, first 2 shown]
	v_add_f64 v[98:99], v[114:115], v[98:99]
	v_add_f64 v[6:7], v[94:95], -v[6:7]
	v_add_f64 v[8:9], v[96:97], -v[8:9]
	v_fma_f64 v[102:103], v[114:115], 2.0, -v[98:99]
	v_add_f64 v[114:115], v[90:91], -v[104:105]
	v_add_f64 v[112:113], v[120:121], -v[112:113]
	v_fma_f64 v[92:93], v[94:95], 2.0, -v[6:7]
	v_fma_f64 v[94:95], v[96:97], 2.0, -v[8:9]
	v_add_f64 v[96:97], v[22:23], -v[100:101]
	v_fma_f64 v[108:109], v[90:91], 2.0, -v[114:115]
	v_fma_f64 v[90:91], v[120:121], 2.0, -v[112:113]
	;; [unrolled: 1-line block ×3, first 2 shown]
	v_add_f64 v[22:23], v[88:89], -v[122:123]
	v_add_f64 v[90:91], v[108:109], -v[90:91]
	;; [unrolled: 1-line block ×3, first 2 shown]
	v_fma_f64 v[106:107], v[108:109], 2.0, -v[90:91]
	v_add_f64 v[108:109], v[22:23], -v[112:113]
	v_fma_f64 v[104:105], v[88:89], 2.0, -v[22:23]
	v_fma_f64 v[112:113], v[22:23], 2.0, -v[108:109]
	v_mov_b32_e32 v22, 0xcc
	v_cndmask_b32_e64 v22, 0, v22, s[0:1]
	v_add_f64 v[2:3], v[10:11], -v[2:3]
	v_add_u32_e32 v22, v24, v22
	v_fma_f64 v[10:11], v[10:11], 2.0, -v[2:3]
	v_add_lshl_u32 v78, v207, v22, 4
	ds_write_b128 v78, v[10:13]
	ds_write_b128 v78, v[18:21] offset:816
	ds_write_b128 v78, v[2:5] offset:1632
	;; [unrolled: 1-line block ×3, first 2 shown]
	v_mul_u32_u24_e32 v2, 0xcc, v25
	v_mov_b64_e32 v[0:1], s[2:3]
	v_fma_f64 v[88:89], v[110:111], 2.0, -v[116:117]
	s_movk_i32 s2, 0xcc
	v_add_u32_e32 v2, v2, v26
	v_add_f64 v[88:89], v[104:105], -v[88:89]
	v_add_lshl_u32 v79, v207, v2, 4
	v_mad_legacy_u16 v2, v27, s2, v28
	s_movk_i32 s0, 0x50
	v_fma_f64 v[104:105], v[104:105], 2.0, -v[88:89]
	v_add_f64 v[110:111], v[114:115], v[116:117]
	v_add_lshl_u32 v198, v207, v2, 4
	v_mad_u64_u32 v[0:1], s[0:1], v204, s0, v[0:1]
	v_fma_f64 v[114:115], v[114:115], 2.0, -v[110:111]
	ds_write_b128 v79, v[92:95]
	ds_write_b128 v79, v[100:103] offset:816
	ds_write_b128 v79, v[6:9] offset:1632
	;; [unrolled: 1-line block ×3, first 2 shown]
	ds_write_b128 v198, v[104:107]
	ds_write_b128 v198, v[112:115] offset:816
	ds_write_b128 v198, v[88:91] offset:1632
	;; [unrolled: 1-line block ×3, first 2 shown]
	s_waitcnt lgkmcnt(0)
	s_barrier
	global_load_dwordx4 v[100:103], v[0:1], off offset:2992
	global_load_dwordx4 v[96:99], v[0:1], off offset:3008
	;; [unrolled: 1-line block ×5, first 2 shown]
	s_mov_b64 s[0:1], 0x1fe0
	v_lshl_add_u64 v[0:1], v[0:1], 0, s[0:1]
	global_load_dwordx4 v[120:123], v[0:1], off offset:2992
	global_load_dwordx4 v[116:119], v[0:1], off offset:3008
	;; [unrolled: 1-line block ×5, first 2 shown]
	ds_read_b128 v[0:3], v200
	ds_read_b128 v[4:7], v200 offset:1632
	ds_read_b128 v[8:11], v200 offset:3264
	;; [unrolled: 1-line block ×11, first 2 shown]
	s_waitcnt vmcnt(9) lgkmcnt(9)
	v_mul_f64 v[152:153], v[10:11], v[102:103]
	v_fma_f64 v[152:153], v[8:9], v[100:101], -v[152:153]
	v_mul_f64 v[8:9], v[8:9], v[102:103]
	v_fmac_f64_e32 v[8:9], v[10:11], v[100:101]
	s_waitcnt vmcnt(8) lgkmcnt(7)
	v_mul_f64 v[10:11], v[18:19], v[98:99]
	v_fma_f64 v[10:11], v[16:17], v[96:97], -v[10:11]
	v_mul_f64 v[16:17], v[16:17], v[98:99]
	v_fmac_f64_e32 v[16:17], v[18:19], v[96:97]
	;; [unrolled: 5-line block ×5, first 2 shown]
	s_waitcnt vmcnt(4)
	v_mul_f64 v[146:147], v[14:15], v[122:123]
	v_fma_f64 v[162:163], v[12:13], v[120:121], -v[146:147]
	v_mul_f64 v[12:13], v[12:13], v[122:123]
	v_fmac_f64_e32 v[12:13], v[14:15], v[120:121]
	s_waitcnt vmcnt(3)
	v_mul_f64 v[14:15], v[22:23], v[118:119]
	v_fma_f64 v[14:15], v[20:21], v[116:117], -v[14:15]
	v_mul_f64 v[20:21], v[20:21], v[118:119]
	v_fmac_f64_e32 v[20:21], v[22:23], v[116:117]
	s_waitcnt vmcnt(2)
	v_mul_f64 v[22:23], v[134:135], v[114:115]
	v_fma_f64 v[22:23], v[132:133], v[112:113], -v[22:23]
	v_mul_f64 v[154:155], v[132:133], v[114:115]
	s_waitcnt vmcnt(1)
	v_mul_f64 v[132:133], v[142:143], v[110:111]
	v_fma_f64 v[156:157], v[140:141], v[108:109], -v[132:133]
	s_waitcnt vmcnt(0) lgkmcnt(0)
	v_mul_f64 v[132:133], v[150:151], v[126:127]
	v_fma_f64 v[160:161], v[148:149], v[124:125], -v[132:133]
	v_add_f64 v[132:133], v[0:1], v[10:11]
	v_mul_f64 v[158:159], v[140:141], v[110:111]
	v_add_f64 v[140:141], v[132:133], v[130:131]
	v_add_f64 v[132:133], v[10:11], v[130:131]
	v_fmac_f64_e32 v[0:1], -0.5, v[132:133]
	v_add_f64 v[132:133], v[16:17], -v[136:137]
	v_fmac_f64_e32 v[158:159], v[142:143], v[108:109]
	v_fma_f64 v[142:143], s[14:15], v[132:133], v[0:1]
	v_fmac_f64_e32 v[0:1], s[10:11], v[132:133]
	v_add_f64 v[132:133], v[2:3], v[16:17]
	v_add_f64 v[16:17], v[16:17], v[136:137]
	v_fmac_f64_e32 v[2:3], -0.5, v[16:17]
	v_add_f64 v[10:11], v[10:11], -v[130:131]
	v_add_f64 v[130:131], v[18:19], v[138:139]
	v_fma_f64 v[16:17], s[10:11], v[10:11], v[2:3]
	v_fmac_f64_e32 v[2:3], s[14:15], v[10:11]
	v_add_f64 v[10:11], v[152:153], v[18:19]
	v_fmac_f64_e32 v[152:153], -0.5, v[130:131]
	v_add_f64 v[130:131], v[128:129], -v[144:145]
	v_fmac_f64_e32 v[154:155], v[134:135], v[112:113]
	v_fma_f64 v[134:135], s[14:15], v[130:131], v[152:153]
	v_fmac_f64_e32 v[152:153], s[10:11], v[130:131]
	v_add_f64 v[130:131], v[8:9], v[128:129]
	v_add_f64 v[128:129], v[128:129], v[144:145]
	v_fmac_f64_e32 v[8:9], -0.5, v[128:129]
	v_add_f64 v[18:19], v[18:19], -v[138:139]
	v_mul_f64 v[164:165], v[148:149], v[126:127]
	v_add_f64 v[10:11], v[10:11], v[138:139]
	v_fma_f64 v[138:139], s[10:11], v[18:19], v[8:9]
	v_fmac_f64_e32 v[8:9], s[14:15], v[18:19]
	v_mul_f64 v[148:149], v[152:153], -0.5
	v_mul_f64 v[18:19], v[138:139], s[14:15]
	v_fmac_f64_e32 v[148:149], s[14:15], v[8:9]
	v_mul_f64 v[8:9], v[8:9], -0.5
	v_fmac_f64_e32 v[164:165], v[150:151], v[124:125]
	v_add_f64 v[146:147], v[132:133], v[136:137]
	v_add_f64 v[150:151], v[130:131], v[144:145]
	v_fmac_f64_e32 v[18:19], 0.5, v[134:135]
	v_mul_f64 v[166:167], v[134:135], s[10:11]
	v_fmac_f64_e32 v[8:9], s[10:11], v[152:153]
	v_add_f64 v[132:133], v[142:143], v[18:19]
	v_add_f64 v[130:131], v[146:147], v[150:151]
	v_fmac_f64_e32 v[166:167], 0.5, v[138:139]
	v_add_f64 v[138:139], v[2:3], v[8:9]
	v_add_f64 v[144:145], v[142:143], -v[18:19]
	v_add_f64 v[142:143], v[146:147], -v[150:151]
	v_add_f64 v[150:151], v[2:3], -v[8:9]
	v_add_f64 v[2:3], v[14:15], v[156:157]
	v_add_f64 v[128:129], v[140:141], v[10:11]
	;; [unrolled: 1-line block ×3, first 2 shown]
	v_add_f64 v[140:141], v[140:141], -v[10:11]
	v_add_f64 v[148:149], v[0:1], -v[148:149]
	v_add_f64 v[0:1], v[4:5], v[14:15]
	v_fmac_f64_e32 v[4:5], -0.5, v[2:3]
	v_add_f64 v[2:3], v[20:21], -v[158:159]
	v_add_f64 v[10:11], v[20:21], v[158:159]
	v_add_f64 v[134:135], v[16:17], v[166:167]
	v_add_f64 v[146:147], v[16:17], -v[166:167]
	v_fma_f64 v[8:9], s[14:15], v[2:3], v[4:5]
	v_fmac_f64_e32 v[4:5], s[10:11], v[2:3]
	v_add_f64 v[2:3], v[6:7], v[20:21]
	v_fmac_f64_e32 v[6:7], -0.5, v[10:11]
	v_add_f64 v[10:11], v[14:15], -v[156:157]
	v_add_f64 v[16:17], v[22:23], v[160:161]
	v_fma_f64 v[14:15], s[10:11], v[10:11], v[6:7]
	v_fmac_f64_e32 v[6:7], s[14:15], v[10:11]
	v_add_f64 v[10:11], v[162:163], v[22:23]
	v_fmac_f64_e32 v[162:163], -0.5, v[16:17]
	v_add_f64 v[16:17], v[154:155], -v[164:165]
	v_add_f64 v[20:21], v[154:155], v[164:165]
	v_fma_f64 v[18:19], s[14:15], v[16:17], v[162:163]
	v_fmac_f64_e32 v[162:163], s[10:11], v[16:17]
	v_add_f64 v[16:17], v[12:13], v[154:155]
	v_fmac_f64_e32 v[12:13], -0.5, v[20:21]
	v_add_f64 v[20:21], v[22:23], -v[160:161]
	v_fma_f64 v[22:23], s[10:11], v[20:21], v[12:13]
	v_fmac_f64_e32 v[12:13], s[14:15], v[20:21]
	v_mul_f64 v[20:21], v[22:23], s[14:15]
	v_mul_f64 v[166:167], v[162:163], -0.5
	v_fmac_f64_e32 v[20:21], 0.5, v[18:19]
	v_fmac_f64_e32 v[166:167], s[14:15], v[12:13]
	v_mul_f64 v[18:19], v[18:19], s[10:11]
	v_mul_f64 v[12:13], v[12:13], -0.5
	v_add_f64 v[0:1], v[0:1], v[156:157]
	v_add_f64 v[2:3], v[2:3], v[158:159]
	;; [unrolled: 1-line block ×4, first 2 shown]
	v_fmac_f64_e32 v[18:19], 0.5, v[22:23]
	v_fmac_f64_e32 v[12:13], s[10:11], v[162:163]
	v_add_f64 v[152:153], v[0:1], v[10:11]
	v_add_f64 v[156:157], v[8:9], v[20:21]
	;; [unrolled: 1-line block ×6, first 2 shown]
	v_add_f64 v[164:165], v[0:1], -v[10:11]
	v_add_f64 v[168:169], v[8:9], -v[20:21]
	;; [unrolled: 1-line block ×6, first 2 shown]
	ds_write_b128 v199, v[128:131]
	ds_write_b128 v201, v[132:135] offset:3264
	ds_write_b128 v201, v[136:139] offset:6528
	;; [unrolled: 1-line block ×11, first 2 shown]
	s_waitcnt lgkmcnt(0)
	s_barrier
	s_and_saveexec_b64 s[2:3], vcc
	s_cbranch_execz .LBB0_9
; %bb.8:
	s_add_u32 s10, s8, 0x4c80
	s_addc_u32 s11, s9, 0
	global_load_dwordx4 v[4:7], v206, s[10:11]
	ds_read_b128 v[0:3], v199
	v_mov_b32_e32 v207, v177
	v_lshl_add_u64 v[176:177], s[10:11], 0, v[206:207]
	s_movk_i32 s0, 0x1000
	v_add_co_u32_e64 v12, s[0:1], s0, v176
	s_waitcnt vmcnt(0) lgkmcnt(0)
	v_mul_f64 v[8:9], v[2:3], v[6:7]
	v_mul_f64 v[10:11], v[0:1], v[6:7]
	v_fma_f64 v[8:9], v[0:1], v[4:5], -v[8:9]
	v_fmac_f64_e32 v[10:11], v[2:3], v[4:5]
	global_load_dwordx4 v[4:7], v206, s[10:11] offset:1152
	ds_write_b128 v199, v[8:11]
	ds_read_b128 v[0:3], v201 offset:1152
	v_addc_co_u32_e64 v13, s[0:1], 0, v177, s[0:1]
	s_movk_i32 s0, 0x2000
	s_waitcnt vmcnt(0) lgkmcnt(0)
	v_mul_f64 v[8:9], v[2:3], v[6:7]
	v_mul_f64 v[10:11], v[0:1], v[6:7]
	v_fma_f64 v[8:9], v[0:1], v[4:5], -v[8:9]
	v_fmac_f64_e32 v[10:11], v[2:3], v[4:5]
	global_load_dwordx4 v[4:7], v206, s[10:11] offset:2304
	ds_read_b128 v[0:3], v201 offset:2304
	ds_write_b128 v201, v[8:11] offset:1152
	s_waitcnt vmcnt(0) lgkmcnt(1)
	v_mul_f64 v[8:9], v[2:3], v[6:7]
	v_mul_f64 v[10:11], v[0:1], v[6:7]
	v_fma_f64 v[8:9], v[0:1], v[4:5], -v[8:9]
	v_fmac_f64_e32 v[10:11], v[2:3], v[4:5]
	global_load_dwordx4 v[4:7], v206, s[10:11] offset:3456
	ds_read_b128 v[0:3], v201 offset:3456
	ds_write_b128 v201, v[8:11] offset:2304
	s_waitcnt vmcnt(0) lgkmcnt(1)
	v_mul_f64 v[8:9], v[2:3], v[6:7]
	v_mul_f64 v[10:11], v[0:1], v[6:7]
	v_fma_f64 v[8:9], v[0:1], v[4:5], -v[8:9]
	v_fmac_f64_e32 v[10:11], v[2:3], v[4:5]
	global_load_dwordx4 v[4:7], v[12:13], off offset:512
	ds_read_b128 v[0:3], v201 offset:4608
	ds_write_b128 v201, v[8:11] offset:3456
	s_waitcnt vmcnt(0) lgkmcnt(1)
	v_mul_f64 v[8:9], v[2:3], v[6:7]
	v_mul_f64 v[10:11], v[0:1], v[6:7]
	v_fma_f64 v[8:9], v[0:1], v[4:5], -v[8:9]
	v_fmac_f64_e32 v[10:11], v[2:3], v[4:5]
	global_load_dwordx4 v[4:7], v[12:13], off offset:1664
	;; [unrolled: 8-line block ×4, first 2 shown]
	ds_read_b128 v[0:3], v201 offset:8064
	v_add_co_u32_e64 v12, s[0:1], s0, v176
	ds_write_b128 v201, v[8:11] offset:6912
	s_nop 0
	v_addc_co_u32_e64 v13, s[0:1], 0, v177, s[0:1]
	s_movk_i32 s0, 0x3000
	s_waitcnt vmcnt(0) lgkmcnt(1)
	v_mul_f64 v[8:9], v[2:3], v[6:7]
	v_mul_f64 v[10:11], v[0:1], v[6:7]
	v_fma_f64 v[8:9], v[0:1], v[4:5], -v[8:9]
	v_fmac_f64_e32 v[10:11], v[2:3], v[4:5]
	global_load_dwordx4 v[4:7], v[12:13], off offset:1024
	ds_read_b128 v[0:3], v201 offset:9216
	ds_write_b128 v201, v[8:11] offset:8064
	s_waitcnt vmcnt(0) lgkmcnt(1)
	v_mul_f64 v[8:9], v[2:3], v[6:7]
	v_mul_f64 v[10:11], v[0:1], v[6:7]
	v_fma_f64 v[8:9], v[0:1], v[4:5], -v[8:9]
	v_fmac_f64_e32 v[10:11], v[2:3], v[4:5]
	global_load_dwordx4 v[4:7], v[12:13], off offset:2176
	ds_read_b128 v[0:3], v201 offset:10368
	ds_write_b128 v201, v[8:11] offset:9216
	s_waitcnt vmcnt(0) lgkmcnt(1)
	v_mul_f64 v[8:9], v[2:3], v[6:7]
	v_mul_f64 v[10:11], v[0:1], v[6:7]
	v_fma_f64 v[8:9], v[0:1], v[4:5], -v[8:9]
	v_fmac_f64_e32 v[10:11], v[2:3], v[4:5]
	global_load_dwordx4 v[4:7], v[12:13], off offset:3328
	ds_read_b128 v[0:3], v201 offset:11520
	v_add_co_u32_e64 v12, s[0:1], s0, v176
	ds_write_b128 v201, v[8:11] offset:10368
	s_nop 0
	v_addc_co_u32_e64 v13, s[0:1], 0, v177, s[0:1]
	s_movk_i32 s0, 0x4000
	s_waitcnt vmcnt(0) lgkmcnt(1)
	v_mul_f64 v[8:9], v[2:3], v[6:7]
	v_mul_f64 v[10:11], v[0:1], v[6:7]
	v_fma_f64 v[8:9], v[0:1], v[4:5], -v[8:9]
	v_fmac_f64_e32 v[10:11], v[2:3], v[4:5]
	global_load_dwordx4 v[4:7], v[12:13], off offset:384
	ds_read_b128 v[0:3], v201 offset:12672
	ds_write_b128 v201, v[8:11] offset:11520
	s_waitcnt vmcnt(0) lgkmcnt(1)
	v_mul_f64 v[8:9], v[2:3], v[6:7]
	v_mul_f64 v[10:11], v[0:1], v[6:7]
	v_fma_f64 v[8:9], v[0:1], v[4:5], -v[8:9]
	v_fmac_f64_e32 v[10:11], v[2:3], v[4:5]
	global_load_dwordx4 v[4:7], v[12:13], off offset:1536
	ds_read_b128 v[0:3], v201 offset:13824
	ds_write_b128 v201, v[8:11] offset:12672
	;; [unrolled: 8-line block ×4, first 2 shown]
	s_waitcnt vmcnt(0) lgkmcnt(1)
	v_mul_f64 v[8:9], v[2:3], v[6:7]
	v_mul_f64 v[10:11], v[0:1], v[6:7]
	v_fma_f64 v[8:9], v[0:1], v[4:5], -v[8:9]
	v_fmac_f64_e32 v[10:11], v[2:3], v[4:5]
	v_add_co_u32_e64 v4, s[0:1], s0, v176
	ds_read_b128 v[0:3], v201 offset:17280
	s_nop 0
	v_addc_co_u32_e64 v5, s[0:1], 0, v177, s[0:1]
	ds_read_b128 v[176:179], v201 offset:18432
	global_load_dwordx4 v[4:7], v[4:5], off offset:896
	ds_write_b128 v201, v[8:11] offset:16128
	s_waitcnt vmcnt(0) lgkmcnt(2)
	v_mul_f64 v[8:9], v[2:3], v[6:7]
	v_fma_f64 v[8:9], v[0:1], v[4:5], -v[8:9]
	v_mul_f64 v[10:11], v[0:1], v[6:7]
	v_or_b32_e32 v0, 0x4800, v206
	global_load_dwordx4 v[180:183], v0, s[10:11]
	v_fmac_f64_e32 v[10:11], v[2:3], v[4:5]
	ds_write_b128 v201, v[8:11] offset:17280
	s_waitcnt vmcnt(0) lgkmcnt(2)
	v_mul_f64 v[0:1], v[178:179], v[182:183]
	v_mul_f64 v[2:3], v[176:177], v[182:183]
	v_fma_f64 v[0:1], v[176:177], v[180:181], -v[0:1]
	v_fmac_f64_e32 v[2:3], v[178:179], v[180:181]
	ds_write_b128 v201, v[0:3] offset:18432
.LBB0_9:
	s_or_b64 exec, exec, s[2:3]
	s_waitcnt lgkmcnt(0)
	s_barrier
	s_and_saveexec_b64 s[0:1], vcc
	s_cbranch_execz .LBB0_11
; %bb.10:
	ds_read_b128 v[128:131], v199
	ds_read_b128 v[132:135], v199 offset:1152
	ds_read_b128 v[136:139], v199 offset:2304
	;; [unrolled: 1-line block ×16, first 2 shown]
.LBB0_11:
	s_or_b64 exec, exec, s[0:1]
	v_add_u32_e32 v176, 0x660, v201
	s_waitcnt lgkmcnt(0)
	s_barrier
	s_and_saveexec_b64 s[0:1], vcc
	s_cbranch_execz .LBB0_13
; %bb.12:
	v_accvgpr_write_b32 a40, v58
	v_accvgpr_write_b32 a44, v62
	s_mov_b32 s34, 0xacd6c6b4
	v_accvgpr_write_b32 a41, v59
	v_accvgpr_write_b32 a42, v60
	;; [unrolled: 1-line block ×6, first 2 shown]
	v_mov_b64_e32 v[60:61], v[210:211]
	v_accvgpr_write_b32 a64, v232
	s_mov_b32 s38, 0x5d8e7cdc
	v_add_f64 v[18:19], v[132:133], -v[210:211]
	s_mov_b32 s35, 0xbfc7851a
	v_mov_b64_e32 v[62:63], v[212:213]
	s_mov_b32 s28, 0x7faef3
	v_accvgpr_write_b32 a65, v233
	v_accvgpr_write_b32 a66, v234
	;; [unrolled: 1-line block ×3, first 2 shown]
	s_mov_b32 s30, 0x4363dd80
	v_add_f64 v[16:17], v[136:137], -v[214:215]
	s_mov_b32 s39, 0x3fd71e95
	s_mov_b32 s24, 0x370991
	v_mul_f64 v[210:211], v[18:19], s[34:35]
	v_add_f64 v[232:233], v[62:63], v[134:135]
	s_mov_b32 s29, 0xbfef7484
	v_accvgpr_write_b32 a56, v74
	s_mov_b32 s44, 0x2a9d6da3
	v_add_f64 v[8:9], v[140:141], -v[218:219]
	s_mov_b32 s31, 0xbfe0d888
	v_accvgpr_write_b32 a4, v208
	v_accvgpr_write_b32 a76, v209
	v_mul_f64 v[208:209], v[16:17], s[38:39]
	v_add_f64 v[252:253], v[216:217], v[138:139]
	s_mov_b32 s25, 0x3fedd6d0
	v_fma_f64 v[22:23], s[28:29], v[232:233], v[210:211]
	v_accvgpr_write_b32 a57, v75
	v_accvgpr_write_b32 a58, v76
	;; [unrolled: 1-line block ×5, first 2 shown]
	v_mov_b64_e32 v[76:77], v[236:237]
	s_mov_b32 s26, 0x6c9a05f6
	v_add_f64 v[0:1], v[144:145], -v[224:225]
	s_mov_b32 s45, 0x3fe58eea
	s_mov_b32 s18, 0x75d4884
	v_accvgpr_write_b32 a69, v198
	v_accvgpr_write_b32 a70, v199
	v_mul_f64 v[198:199], v[8:9], s[30:31]
	v_add_f64 v[248:249], v[142:143], v[220:221]
	v_fma_f64 v[20:21], s[24:25], v[252:253], v[208:209]
	v_add_f64 v[22:23], v[130:131], v[22:23]
	v_accvgpr_write_b32 a48, v66
	v_mov_b64_e32 v[78:79], v[238:239]
	s_mov_b32 s36, 0x7c9e640b
	v_add_f64 v[254:255], v[148:149], -v[76:77]
	s_mov_b32 s27, 0xbfe9895b
	s_mov_b32 s16, 0x6ed5f1bb
	v_accvgpr_write_b32 a1, v196
	v_accvgpr_write_b32 a3, v197
	v_mul_f64 v[196:197], v[0:1], s[44:45]
	v_add_f64 v[244:245], v[146:147], v[226:227]
	s_mov_b32 s19, 0x3fe7a5f6
	v_fma_f64 v[14:15], s[22:23], v[248:249], v[198:199]
	v_add_f64 v[20:21], v[20:21], v[22:23]
	v_accvgpr_write_b32 a49, v67
	v_accvgpr_write_b32 a50, v68
	;; [unrolled: 1-line block ×3, first 2 shown]
	v_mov_b64_e32 v[64:65], v[214:215]
	v_accvgpr_write_b32 a52, v70
	s_mov_b32 s20, 0x923c349f
	v_add_f64 v[250:251], v[152:153], -v[172:173]
	s_mov_b32 s37, 0x3feca52d
	s_mov_b32 s14, 0x2b2883cd
	v_mul_f64 v[182:183], v[254:255], s[26:27]
	v_add_f64 v[240:241], v[78:79], v[150:151]
	s_mov_b32 s17, 0xbfe348c8
	v_fma_f64 v[12:13], s[18:19], v[244:245], v[196:197]
	v_add_f64 v[14:15], v[14:15], v[20:21]
	v_mov_b64_e32 v[66:67], v[216:217]
	v_accvgpr_write_b32 a53, v71
	v_accvgpr_write_b32 a54, v72
	;; [unrolled: 1-line block ×3, first 2 shown]
	v_mov_b64_e32 v[68:69], v[218:219]
	v_add_f64 v[22:23], v[134:135], -v[62:63]
	s_mov_b32 s48, 0xeb564b22
	v_add_f64 v[246:247], v[156:157], -v[168:169]
	s_mov_b32 s21, 0xbfeec746
	s_mov_b32 s10, 0xc61f0d01
	v_mul_f64 v[180:181], v[250:251], s[36:37]
	v_add_f64 v[238:239], v[174:175], v[154:155]
	s_mov_b32 s15, 0x3fdc86fa
	v_fma_f64 v[10:11], s[16:17], v[240:241], v[182:183]
	v_add_f64 v[12:13], v[12:13], v[14:15]
	v_accvgpr_write_b32 a60, v228
	v_mov_b64_e32 v[70:71], v[220:221]
	v_mov_b64_e32 v[72:73], v[224:225]
	v_add_f64 v[20:21], v[138:139], -v[66:67]
	v_add_f64 v[14:15], v[60:61], v[132:133]
	v_mul_f64 v[30:31], v[22:23], s[34:35]
	v_accvgpr_write_b32 a6, v32
	v_add_f64 v[242:243], v[160:161], -v[164:165]
	s_mov_b32 s49, 0x3fefdd0d
	s_mov_b32 s2, 0x3259b75e
	v_mul_f64 v[178:179], v[246:247], s[20:21]
	v_add_f64 v[236:237], v[158:159], v[170:171]
	s_mov_b32 s11, 0xbfd183b1
	v_fma_f64 v[6:7], s[14:15], v[238:239], v[180:181]
	v_add_f64 v[10:11], v[10:11], v[12:13]
	v_accvgpr_write_b32 a61, v229
	v_accvgpr_write_b32 a62, v230
	;; [unrolled: 1-line block ×4, first 2 shown]
	v_mov_b64_e32 v[74:75], v[226:227]
	v_add_f64 v[230:231], v[142:143], -v[70:71]
	v_add_f64 v[12:13], v[64:65], v[136:137]
	v_mul_f64 v[26:27], v[20:21], s[38:39]
	v_accvgpr_write_b32 a7, v33
	v_accvgpr_write_b32 a8, v34
	v_accvgpr_write_b32 a9, v35
	v_fma_f64 v[32:33], v[14:15], s[28:29], -v[30:31]
	v_accvgpr_write_b32 a71, v176
	v_mul_f64 v[176:177], v[242:243], s[48:49]
	v_add_f64 v[234:235], v[162:163], v[166:167]
	s_mov_b32 s3, 0x3fb79ee6
	v_fma_f64 v[4:5], s[10:11], v[236:237], v[178:179]
	v_add_f64 v[6:7], v[6:7], v[10:11]
	v_accvgpr_write_b32 a35, v193
	v_accvgpr_write_b32 a36, v194
	;; [unrolled: 1-line block ×3, first 2 shown]
	v_add_f64 v[192:193], v[146:147], -v[74:75]
	v_add_f64 v[10:11], v[140:141], v[68:69]
	v_accvgpr_write_b32 a0, v204
	v_mul_f64 v[204:205], v[230:231], s[30:31]
	v_fma_f64 v[28:29], v[12:13], s[24:25], -v[26:27]
	v_add_f64 v[32:33], v[128:129], v[32:33]
	v_fma_f64 v[2:3], s[2:3], v[234:235], v[176:177]
	v_add_f64 v[4:5], v[4:5], v[6:7]
	v_accvgpr_write_b32 a30, v188
	v_add_f64 v[194:195], v[150:151], -v[78:79]
	v_add_f64 v[6:7], v[144:145], v[72:73]
	v_accvgpr_write_b32 a2, v206
	v_mul_f64 v[206:207], v[192:193], s[44:45]
	v_fma_f64 v[24:25], v[10:11], s[22:23], -v[204:205]
	v_add_f64 v[28:29], v[28:29], v[32:33]
	v_add_f64 v[54:55], v[2:3], v[4:5]
	v_accvgpr_write_b32 a26, v184
	v_accvgpr_write_b32 a31, v189
	;; [unrolled: 1-line block ×4, first 2 shown]
	v_add_f64 v[188:189], v[154:155], -v[174:175]
	v_add_f64 v[4:5], v[76:77], v[148:149]
	v_mul_f64 v[224:225], v[194:195], s[26:27]
	v_fma_f64 v[202:203], v[6:7], s[18:19], -v[206:207]
	v_add_f64 v[24:25], v[24:25], v[28:29]
	v_accvgpr_write_b32 a27, v185
	v_accvgpr_write_b32 a28, v186
	;; [unrolled: 1-line block ×3, first 2 shown]
	v_add_f64 v[190:191], v[158:159], -v[170:171]
	v_add_f64 v[186:187], v[172:173], v[152:153]
	v_mul_f64 v[220:221], v[188:189], s[36:37]
	v_fma_f64 v[226:227], v[4:5], s[16:17], -v[224:225]
	v_add_f64 v[24:25], v[202:203], v[24:25]
	v_add_f64 v[228:229], v[162:163], -v[166:167]
	v_add_f64 v[184:185], v[156:157], v[168:169]
	v_mul_f64 v[216:217], v[190:191], s[20:21]
	v_fma_f64 v[222:223], v[186:187], s[14:15], -v[220:221]
	v_add_f64 v[24:25], v[226:227], v[24:25]
	v_fma_f64 v[34:35], v[240:241], s[16:17], -v[182:183]
	v_fma_f64 v[182:183], v[232:233], s[28:29], -v[210:211]
	v_add_f64 v[2:3], v[160:161], v[164:165]
	v_mul_f64 v[212:213], v[228:229], s[48:49]
	v_fma_f64 v[218:219], v[184:185], s[10:11], -v[216:217]
	v_add_f64 v[24:25], v[222:223], v[24:25]
	v_fma_f64 v[32:33], v[238:239], s[14:15], -v[180:181]
	v_fma_f64 v[180:181], v[252:253], s[24:25], -v[208:209]
	v_add_f64 v[182:183], v[130:131], v[182:183]
	v_fma_f64 v[214:215], v[2:3], s[2:3], -v[212:213]
	v_add_f64 v[24:25], v[218:219], v[24:25]
	v_fma_f64 v[28:29], v[236:237], s[10:11], -v[178:179]
	v_fma_f64 v[178:179], v[248:249], s[22:23], -v[198:199]
	v_add_f64 v[180:181], v[180:181], v[182:183]
	v_add_f64 v[52:53], v[214:215], v[24:25]
	v_fma_f64 v[24:25], v[234:235], s[2:3], -v[176:177]
	v_fma_f64 v[176:177], v[244:245], s[18:19], -v[196:197]
	v_add_f64 v[178:179], v[178:179], v[180:181]
	v_add_f64 v[176:177], v[176:177], v[178:179]
	;; [unrolled: 1-line block ×5, first 2 shown]
	v_fmac_f64_e32 v[30:31], s[28:29], v[14:15]
	v_add_f64 v[28:29], v[24:25], v[28:29]
	v_fmac_f64_e32 v[26:27], s[24:25], v[12:13]
	v_add_f64 v[24:25], v[128:129], v[30:31]
	v_fmac_f64_e32 v[204:205], s[22:23], v[10:11]
	v_add_f64 v[24:25], v[26:27], v[24:25]
	v_fmac_f64_e32 v[206:207], s[18:19], v[6:7]
	v_add_f64 v[24:25], v[204:205], v[24:25]
	v_add_f64 v[24:25], v[206:207], v[24:25]
	v_mul_f64 v[206:207], v[18:19], s[30:31]
	v_fmac_f64_e32 v[224:225], s[16:17], v[4:5]
	s_mov_b32 s43, 0xbfefdd0d
	s_mov_b32 s42, s48
	v_mul_f64 v[202:203], v[16:17], s[36:37]
	v_fma_f64 v[208:209], s[22:23], v[232:233], v[206:207]
	v_fmac_f64_e32 v[220:221], s[14:15], v[186:187]
	v_add_f64 v[24:25], v[224:225], v[24:25]
	s_mov_b32 s55, 0x3fe9895b
	s_mov_b32 s54, s26
	v_mul_f64 v[196:197], v[8:9], s[42:43]
	v_fma_f64 v[204:205], s[14:15], v[252:253], v[202:203]
	v_add_f64 v[208:209], v[130:131], v[208:209]
	v_mul_f64 v[222:223], v[22:23], s[30:31]
	v_fmac_f64_e32 v[216:217], s[10:11], v[184:185]
	v_add_f64 v[24:25], v[220:221], v[24:25]
	s_mov_b32 s41, 0xbfd71e95
	s_mov_b32 s40, s38
	v_mul_f64 v[180:181], v[0:1], s[54:55]
	v_fma_f64 v[198:199], s[2:3], v[248:249], v[196:197]
	v_add_f64 v[204:205], v[204:205], v[208:209]
	v_mul_f64 v[218:219], v[20:21], s[36:37]
	v_fma_f64 v[224:225], v[14:15], s[22:23], -v[222:223]
	v_fmac_f64_e32 v[212:213], s[2:3], v[2:3]
	v_add_f64 v[24:25], v[216:217], v[24:25]
	v_mul_f64 v[176:177], v[254:255], s[40:41]
	v_fma_f64 v[182:183], s[16:17], v[244:245], v[180:181]
	v_add_f64 v[198:199], v[198:199], v[204:205]
	v_mul_f64 v[214:215], v[230:231], s[42:43]
	v_fma_f64 v[220:221], v[12:13], s[14:15], -v[218:219]
	v_add_f64 v[224:225], v[128:129], v[224:225]
	v_add_f64 v[26:27], v[212:213], v[24:25]
	v_accvgpr_write_b32 a81, v29
	v_mul_f64 v[32:33], v[250:251], s[34:35]
	v_fma_f64 v[178:179], s[24:25], v[240:241], v[176:177]
	v_add_f64 v[182:183], v[182:183], v[198:199]
	v_mul_f64 v[210:211], v[192:193], s[54:55]
	v_fma_f64 v[216:217], v[10:11], s[2:3], -v[214:215]
	v_add_f64 v[220:221], v[220:221], v[224:225]
	v_accvgpr_write_b32 a80, v28
	v_accvgpr_write_b32 a79, v27
	;; [unrolled: 1-line block ×3, first 2 shown]
	v_mul_f64 v[28:29], v[246:247], s[44:45]
	v_fma_f64 v[34:35], s[28:29], v[238:239], v[32:33]
	v_add_f64 v[178:179], v[178:179], v[182:183]
	v_mul_f64 v[204:205], v[194:195], s[40:41]
	v_fma_f64 v[212:213], v[6:7], s[16:17], -v[210:211]
	v_add_f64 v[216:217], v[216:217], v[220:221]
	v_mul_f64 v[24:25], v[242:243], s[20:21]
	v_fma_f64 v[30:31], s[18:19], v[236:237], v[28:29]
	v_add_f64 v[34:35], v[34:35], v[178:179]
	v_mul_f64 v[182:183], v[188:189], s[34:35]
	v_fma_f64 v[208:209], v[4:5], s[24:25], -v[204:205]
	v_add_f64 v[212:213], v[212:213], v[216:217]
	v_accvgpr_write_b32 a75, v55
	v_fma_f64 v[26:27], s[10:11], v[234:235], v[24:25]
	v_add_f64 v[30:31], v[30:31], v[34:35]
	v_mul_f64 v[34:35], v[190:191], s[44:45]
	v_fma_f64 v[198:199], v[186:187], s[28:29], -v[182:183]
	v_add_f64 v[208:209], v[208:209], v[212:213]
	v_accvgpr_write_b32 a74, v54
	v_accvgpr_write_b32 a73, v53
	;; [unrolled: 1-line block ×3, first 2 shown]
	v_add_f64 v[54:55], v[26:27], v[30:31]
	v_mul_f64 v[26:27], v[228:229], s[20:21]
	v_fma_f64 v[178:179], v[184:185], s[18:19], -v[34:35]
	v_add_f64 v[198:199], v[198:199], v[208:209]
	v_fma_f64 v[30:31], v[2:3], s[10:11], -v[26:27]
	v_add_f64 v[178:179], v[178:179], v[198:199]
	v_add_f64 v[52:53], v[30:31], v[178:179]
	v_fma_f64 v[178:179], v[248:249], s[2:3], -v[196:197]
	v_fma_f64 v[196:197], v[232:233], s[22:23], -v[206:207]
	;; [unrolled: 1-line block ×6, first 2 shown]
	v_add_f64 v[196:197], v[130:131], v[196:197]
	v_add_f64 v[180:181], v[180:181], v[196:197]
	;; [unrolled: 1-line block ×5, first 2 shown]
	v_fma_f64 v[28:29], v[236:237], s[18:19], -v[28:29]
	v_add_f64 v[30:31], v[30:31], v[32:33]
	v_fma_f64 v[24:25], v[234:235], s[10:11], -v[24:25]
	v_add_f64 v[28:29], v[28:29], v[30:31]
	v_fmac_f64_e32 v[222:223], s[22:23], v[14:15]
	v_add_f64 v[28:29], v[24:25], v[28:29]
	v_fmac_f64_e32 v[218:219], s[14:15], v[12:13]
	v_add_f64 v[24:25], v[128:129], v[222:223]
	v_fmac_f64_e32 v[214:215], s[2:3], v[10:11]
	v_add_f64 v[24:25], v[218:219], v[24:25]
	v_fmac_f64_e32 v[210:211], s[16:17], v[6:7]
	v_add_f64 v[24:25], v[214:215], v[24:25]
	s_mov_b32 s53, 0x3feec746
	s_mov_b32 s52, s20
	v_mul_f64 v[206:207], v[18:19], s[26:27]
	v_fmac_f64_e32 v[204:205], s[24:25], v[4:5]
	v_add_f64 v[24:25], v[210:211], v[24:25]
	v_mul_f64 v[202:203], v[16:17], s[52:53]
	v_fma_f64 v[208:209], s[16:17], v[232:233], v[206:207]
	v_fmac_f64_e32 v[182:183], s[28:29], v[186:187]
	v_add_f64 v[24:25], v[204:205], v[24:25]
	v_mul_f64 v[196:197], v[8:9], s[40:41]
	v_fma_f64 v[204:205], s[10:11], v[252:253], v[202:203]
	v_add_f64 v[208:209], v[130:131], v[208:209]
	v_mul_f64 v[222:223], v[22:23], s[26:27]
	v_fmac_f64_e32 v[34:35], s[18:19], v[184:185]
	v_add_f64 v[24:25], v[182:183], v[24:25]
	v_mul_f64 v[180:181], v[0:1], s[30:31]
	v_fma_f64 v[198:199], s[24:25], v[248:249], v[196:197]
	v_add_f64 v[204:205], v[204:205], v[208:209]
	v_mul_f64 v[218:219], v[20:21], s[52:53]
	v_fma_f64 v[224:225], v[14:15], s[16:17], -v[222:223]
	v_fmac_f64_e32 v[26:27], s[10:11], v[2:3]
	v_add_f64 v[24:25], v[34:35], v[24:25]
	s_mov_b32 s47, 0xbfe58eea
	s_mov_b32 s46, s44
	v_mul_f64 v[176:177], v[254:255], s[48:49]
	v_fma_f64 v[182:183], s[22:23], v[244:245], v[180:181]
	v_add_f64 v[198:199], v[198:199], v[204:205]
	v_mul_f64 v[214:215], v[230:231], s[40:41]
	v_fma_f64 v[220:221], v[12:13], s[10:11], -v[218:219]
	v_add_f64 v[224:225], v[128:129], v[224:225]
	v_add_f64 v[26:27], v[26:27], v[24:25]
	v_accvgpr_write_b32 a89, v29
	v_mul_f64 v[32:33], v[250:251], s[46:47]
	v_fma_f64 v[178:179], s[2:3], v[240:241], v[176:177]
	v_add_f64 v[182:183], v[182:183], v[198:199]
	v_mul_f64 v[210:211], v[192:193], s[30:31]
	v_fma_f64 v[216:217], v[10:11], s[24:25], -v[214:215]
	v_add_f64 v[220:221], v[220:221], v[224:225]
	v_accvgpr_write_b32 a88, v28
	v_accvgpr_write_b32 a87, v27
	;; [unrolled: 1-line block ×3, first 2 shown]
	v_mul_f64 v[28:29], v[246:247], s[34:35]
	v_fma_f64 v[34:35], s[18:19], v[238:239], v[32:33]
	v_add_f64 v[178:179], v[178:179], v[182:183]
	v_mul_f64 v[204:205], v[194:195], s[48:49]
	v_fma_f64 v[212:213], v[6:7], s[22:23], -v[210:211]
	v_add_f64 v[216:217], v[216:217], v[220:221]
	v_mul_f64 v[24:25], v[242:243], s[36:37]
	v_fma_f64 v[30:31], s[28:29], v[236:237], v[28:29]
	v_add_f64 v[34:35], v[34:35], v[178:179]
	v_mul_f64 v[182:183], v[188:189], s[46:47]
	v_fma_f64 v[208:209], v[4:5], s[2:3], -v[204:205]
	v_add_f64 v[212:213], v[212:213], v[216:217]
	v_accvgpr_write_b32 a85, v55
	v_fma_f64 v[26:27], s[14:15], v[234:235], v[24:25]
	v_add_f64 v[30:31], v[30:31], v[34:35]
	v_mul_f64 v[34:35], v[190:191], s[34:35]
	v_fma_f64 v[198:199], v[186:187], s[18:19], -v[182:183]
	v_add_f64 v[208:209], v[208:209], v[212:213]
	v_accvgpr_write_b32 a84, v54
	v_accvgpr_write_b32 a83, v53
	;; [unrolled: 1-line block ×3, first 2 shown]
	v_add_f64 v[54:55], v[26:27], v[30:31]
	v_mul_f64 v[26:27], v[228:229], s[36:37]
	v_fma_f64 v[178:179], v[184:185], s[28:29], -v[34:35]
	v_add_f64 v[198:199], v[198:199], v[208:209]
	v_fma_f64 v[30:31], v[2:3], s[14:15], -v[26:27]
	v_add_f64 v[178:179], v[178:179], v[198:199]
	v_add_f64 v[52:53], v[30:31], v[178:179]
	v_fma_f64 v[178:179], v[248:249], s[24:25], -v[196:197]
	v_fma_f64 v[196:197], v[232:233], s[16:17], -v[206:207]
	;; [unrolled: 1-line block ×6, first 2 shown]
	v_add_f64 v[196:197], v[130:131], v[196:197]
	v_add_f64 v[180:181], v[180:181], v[196:197]
	;; [unrolled: 1-line block ×5, first 2 shown]
	v_fma_f64 v[28:29], v[236:237], s[28:29], -v[28:29]
	v_add_f64 v[30:31], v[30:31], v[32:33]
	v_fma_f64 v[24:25], v[234:235], s[14:15], -v[24:25]
	v_add_f64 v[28:29], v[28:29], v[30:31]
	v_fmac_f64_e32 v[222:223], s[16:17], v[14:15]
	v_add_f64 v[28:29], v[24:25], v[28:29]
	v_fmac_f64_e32 v[218:219], s[10:11], v[12:13]
	;; [unrolled: 2-line block ×4, first 2 shown]
	v_add_f64 v[24:25], v[214:215], v[24:25]
	s_mov_b32 s57, 0x3fe0d888
	s_mov_b32 s56, s30
	v_mul_f64 v[206:207], v[18:19], s[20:21]
	v_fmac_f64_e32 v[204:205], s[2:3], v[4:5]
	v_add_f64 v[24:25], v[210:211], v[24:25]
	v_mul_f64 v[202:203], v[16:17], s[56:57]
	v_fma_f64 v[208:209], s[10:11], v[232:233], v[206:207]
	v_fmac_f64_e32 v[182:183], s[18:19], v[186:187]
	v_add_f64 v[24:25], v[204:205], v[24:25]
	s_mov_b32 s51, 0xbfeca52d
	s_mov_b32 s50, s36
	v_mul_f64 v[198:199], v[8:9], s[44:45]
	v_fma_f64 v[204:205], s[22:23], v[252:253], v[202:203]
	v_add_f64 v[208:209], v[130:131], v[208:209]
	v_mul_f64 v[224:225], v[22:23], s[20:21]
	v_fmac_f64_e32 v[34:35], s[28:29], v[184:185]
	v_add_f64 v[24:25], v[182:183], v[24:25]
	v_mul_f64 v[196:197], v[0:1], s[50:51]
	v_fma_f64 v[182:183], s[18:19], v[248:249], v[198:199]
	v_add_f64 v[204:205], v[204:205], v[208:209]
	v_mul_f64 v[220:221], v[20:21], s[56:57]
	v_fma_f64 v[226:227], v[14:15], s[10:11], -v[224:225]
	v_fmac_f64_e32 v[26:27], s[14:15], v[2:3]
	v_add_f64 v[24:25], v[34:35], v[24:25]
	v_mul_f64 v[176:177], v[254:255], s[34:35]
	v_fma_f64 v[180:181], s[14:15], v[244:245], v[196:197]
	v_add_f64 v[182:183], v[182:183], v[204:205]
	v_mul_f64 v[216:217], v[230:231], s[44:45]
	v_fma_f64 v[222:223], v[12:13], s[22:23], -v[220:221]
	v_add_f64 v[226:227], v[128:129], v[226:227]
	v_add_f64 v[26:27], v[26:27], v[24:25]
	v_accvgpr_write_b32 a97, v29
	v_mul_f64 v[32:33], v[250:251], s[48:49]
	v_fma_f64 v[178:179], s[28:29], v[240:241], v[176:177]
	v_add_f64 v[180:181], v[180:181], v[182:183]
	v_mul_f64 v[212:213], v[192:193], s[50:51]
	v_fma_f64 v[218:219], v[10:11], s[18:19], -v[216:217]
	v_add_f64 v[222:223], v[222:223], v[226:227]
	v_accvgpr_write_b32 a96, v28
	v_accvgpr_write_b32 a95, v27
	;; [unrolled: 1-line block ×3, first 2 shown]
	v_mul_f64 v[28:29], v[246:247], s[40:41]
	v_fma_f64 v[34:35], s[2:3], v[238:239], v[32:33]
	v_add_f64 v[178:179], v[178:179], v[180:181]
	v_mul_f64 v[208:209], v[194:195], s[34:35]
	v_fma_f64 v[214:215], v[6:7], s[14:15], -v[212:213]
	v_add_f64 v[218:219], v[218:219], v[222:223]
	v_mul_f64 v[24:25], v[242:243], s[26:27]
	v_fma_f64 v[30:31], s[24:25], v[236:237], v[28:29]
	v_add_f64 v[34:35], v[34:35], v[178:179]
	v_mul_f64 v[204:205], v[188:189], s[48:49]
	v_fma_f64 v[210:211], v[4:5], s[28:29], -v[208:209]
	v_add_f64 v[214:215], v[214:215], v[218:219]
	v_fma_f64 v[26:27], s[16:17], v[234:235], v[24:25]
	v_add_f64 v[30:31], v[30:31], v[34:35]
	v_mul_f64 v[34:35], v[190:191], s[40:41]
	v_fma_f64 v[180:181], v[186:187], s[2:3], -v[204:205]
	v_add_f64 v[210:211], v[210:211], v[214:215]
	v_add_f64 v[182:183], v[26:27], v[30:31]
	v_mul_f64 v[26:27], v[228:229], s[26:27]
	v_fma_f64 v[178:179], v[184:185], s[24:25], -v[34:35]
	v_add_f64 v[180:181], v[180:181], v[210:211]
	v_fma_f64 v[30:31], v[2:3], s[16:17], -v[26:27]
	v_add_f64 v[178:179], v[178:179], v[180:181]
	v_add_f64 v[180:181], v[30:31], v[178:179]
	v_fma_f64 v[178:179], v[248:249], s[18:19], -v[198:199]
	v_fma_f64 v[198:199], v[232:233], s[10:11], -v[206:207]
	;; [unrolled: 1-line block ×6, first 2 shown]
	v_add_f64 v[198:199], v[130:131], v[198:199]
	v_add_f64 v[196:197], v[196:197], v[198:199]
	;; [unrolled: 1-line block ×5, first 2 shown]
	v_fma_f64 v[28:29], v[236:237], s[24:25], -v[28:29]
	v_add_f64 v[30:31], v[30:31], v[32:33]
	v_fma_f64 v[24:25], v[234:235], s[16:17], -v[24:25]
	v_add_f64 v[28:29], v[28:29], v[30:31]
	v_fmac_f64_e32 v[224:225], s[10:11], v[14:15]
	v_add_f64 v[178:179], v[24:25], v[28:29]
	v_fmac_f64_e32 v[220:221], s[22:23], v[12:13]
	;; [unrolled: 2-line block ×4, first 2 shown]
	v_add_f64 v[24:25], v[216:217], v[24:25]
	v_mul_f64 v[214:215], v[18:19], s[42:43]
	v_add_f64 v[24:25], v[212:213], v[24:25]
	v_mul_f64 v[212:213], v[16:17], s[34:35]
	v_fma_f64 v[216:217], s[2:3], v[232:233], v[214:215]
	v_accvgpr_write_b32 a14, v40
	v_fmac_f64_e32 v[208:209], s[28:29], v[4:5]
	v_mul_f64 v[206:207], v[8:9], s[52:53]
	v_fma_f64 v[210:211], s[28:29], v[252:253], v[212:213]
	v_add_f64 v[216:217], v[130:131], v[216:217]
	v_accvgpr_write_b32 a10, v36
	v_accvgpr_write_b32 a15, v41
	v_accvgpr_write_b32 a16, v42
	v_accvgpr_write_b32 a17, v43
	v_mul_f64 v[40:41], v[22:23], s[42:43]
	v_fmac_f64_e32 v[204:205], s[2:3], v[186:187]
	v_add_f64 v[24:25], v[208:209], v[24:25]
	v_mul_f64 v[202:203], v[0:1], s[38:39]
	v_fma_f64 v[208:209], s[10:11], v[248:249], v[206:207]
	v_add_f64 v[210:211], v[210:211], v[216:217]
	v_accvgpr_write_b32 a11, v37
	v_accvgpr_write_b32 a12, v38
	;; [unrolled: 1-line block ×3, first 2 shown]
	v_mul_f64 v[36:37], v[20:21], s[34:35]
	v_fma_f64 v[42:43], v[14:15], s[2:3], -v[40:41]
	v_add_f64 v[24:25], v[204:205], v[24:25]
	v_mul_f64 v[196:197], v[254:255], s[50:51]
	v_fma_f64 v[204:205], s[24:25], v[244:245], v[202:203]
	v_add_f64 v[208:209], v[208:209], v[210:211]
	v_mul_f64 v[224:225], v[230:231], s[52:53]
	v_fma_f64 v[38:39], v[12:13], s[28:29], -v[36:37]
	v_add_f64 v[42:43], v[128:129], v[42:43]
	v_fmac_f64_e32 v[34:35], s[24:25], v[184:185]
	v_mul_f64 v[32:33], v[250:251], s[30:31]
	v_fma_f64 v[198:199], s[14:15], v[240:241], v[196:197]
	v_add_f64 v[204:205], v[204:205], v[208:209]
	v_mul_f64 v[220:221], v[192:193], s[38:39]
	v_fma_f64 v[226:227], v[10:11], s[10:11], -v[224:225]
	v_add_f64 v[38:39], v[38:39], v[42:43]
	v_fmac_f64_e32 v[26:27], s[16:17], v[2:3]
	v_add_f64 v[24:25], v[34:35], v[24:25]
	v_mul_f64 v[28:29], v[246:247], s[54:55]
	v_fma_f64 v[34:35], s[22:23], v[238:239], v[32:33]
	v_add_f64 v[198:199], v[198:199], v[204:205]
	v_mul_f64 v[216:217], v[194:195], s[50:51]
	v_fma_f64 v[222:223], v[6:7], s[24:25], -v[220:221]
	v_add_f64 v[38:39], v[226:227], v[38:39]
	v_add_f64 v[176:177], v[26:27], v[24:25]
	v_mul_f64 v[24:25], v[242:243], s[44:45]
	v_fma_f64 v[30:31], s[16:17], v[236:237], v[28:29]
	v_add_f64 v[34:35], v[34:35], v[198:199]
	v_mul_f64 v[204:205], v[188:189], s[30:31]
	v_fma_f64 v[218:219], v[4:5], s[14:15], -v[216:217]
	v_add_f64 v[38:39], v[222:223], v[38:39]
	v_fma_f64 v[26:27], s[18:19], v[234:235], v[24:25]
	v_add_f64 v[30:31], v[30:31], v[34:35]
	v_mul_f64 v[34:35], v[190:191], s[54:55]
	v_fma_f64 v[208:209], v[186:187], s[22:23], -v[204:205]
	v_add_f64 v[38:39], v[218:219], v[38:39]
	v_add_f64 v[210:211], v[26:27], v[30:31]
	v_mul_f64 v[26:27], v[228:229], s[44:45]
	v_fma_f64 v[198:199], v[184:185], s[16:17], -v[34:35]
	v_add_f64 v[38:39], v[208:209], v[38:39]
	v_fma_f64 v[30:31], v[2:3], s[18:19], -v[26:27]
	v_add_f64 v[38:39], v[198:199], v[38:39]
	;; [unrolled: 2-line block ×3, first 2 shown]
	v_fma_f64 v[30:31], v[238:239], s[22:23], -v[32:33]
	v_fma_f64 v[32:33], v[240:241], s[14:15], -v[196:197]
	;; [unrolled: 1-line block ×3, first 2 shown]
	v_add_f64 v[198:199], v[130:131], v[198:199]
	v_fma_f64 v[42:43], v[248:249], s[10:11], -v[206:207]
	v_add_f64 v[196:197], v[196:197], v[198:199]
	v_fma_f64 v[38:39], v[244:245], s[24:25], -v[202:203]
	v_add_f64 v[42:43], v[42:43], v[196:197]
	v_add_f64 v[38:39], v[38:39], v[42:43]
	;; [unrolled: 1-line block ×3, first 2 shown]
	v_fma_f64 v[28:29], v[236:237], s[16:17], -v[28:29]
	v_add_f64 v[30:31], v[30:31], v[32:33]
	v_fma_f64 v[24:25], v[234:235], s[18:19], -v[24:25]
	v_add_f64 v[28:29], v[28:29], v[30:31]
	v_fmac_f64_e32 v[40:41], s[2:3], v[14:15]
	v_add_f64 v[214:215], v[24:25], v[28:29]
	v_fmac_f64_e32 v[36:37], s[28:29], v[12:13]
	;; [unrolled: 2-line block ×5, first 2 shown]
	v_add_f64 v[24:25], v[220:221], v[24:25]
	v_mul_f64 v[206:207], v[18:19], s[50:51]
	v_fmac_f64_e32 v[204:205], s[22:23], v[186:187]
	v_add_f64 v[24:25], v[216:217], v[24:25]
	s_mov_b32 s49, 0x3fc7851a
	s_mov_b32 s48, s34
	v_mul_f64 v[202:203], v[16:17], s[26:27]
	v_fma_f64 v[216:217], s[14:15], v[232:233], v[206:207]
	v_accvgpr_write_b32 a22, v48
	v_add_f64 v[24:25], v[204:205], v[24:25]
	v_mul_f64 v[196:197], v[8:9], s[48:49]
	v_fma_f64 v[204:205], s[16:17], v[252:253], v[202:203]
	v_add_f64 v[216:217], v[130:131], v[216:217]
	v_accvgpr_write_b32 a18, v44
	v_accvgpr_write_b32 a23, v49
	v_accvgpr_write_b32 a24, v50
	v_accvgpr_write_b32 a25, v51
	v_mul_f64 v[48:49], v[22:23], s[50:51]
	v_mul_f64 v[40:41], v[0:1], s[52:53]
	v_fma_f64 v[198:199], s[28:29], v[248:249], v[196:197]
	v_add_f64 v[204:205], v[204:205], v[216:217]
	v_accvgpr_write_b32 a19, v45
	v_accvgpr_write_b32 a20, v46
	;; [unrolled: 1-line block ×3, first 2 shown]
	v_mul_f64 v[44:45], v[20:21], s[26:27]
	v_fma_f64 v[50:51], v[14:15], s[14:15], -v[48:49]
	v_mul_f64 v[36:37], v[254:255], s[44:45]
	v_fma_f64 v[42:43], s[10:11], v[244:245], v[40:41]
	v_add_f64 v[198:199], v[198:199], v[204:205]
	v_mul_f64 v[224:225], v[230:231], s[48:49]
	v_fma_f64 v[46:47], v[12:13], s[16:17], -v[44:45]
	v_add_f64 v[50:51], v[128:129], v[50:51]
	v_fmac_f64_e32 v[34:35], s[16:17], v[184:185]
	v_mul_f64 v[32:33], v[250:251], s[40:41]
	v_fma_f64 v[38:39], s[18:19], v[240:241], v[36:37]
	v_add_f64 v[42:43], v[42:43], v[198:199]
	v_mul_f64 v[220:221], v[192:193], s[52:53]
	v_fma_f64 v[226:227], v[10:11], s[28:29], -v[224:225]
	v_add_f64 v[46:47], v[46:47], v[50:51]
	v_fmac_f64_e32 v[26:27], s[18:19], v[2:3]
	v_add_f64 v[24:25], v[34:35], v[24:25]
	v_mul_f64 v[28:29], v[246:247], s[42:43]
	v_fma_f64 v[34:35], s[24:25], v[238:239], v[32:33]
	v_add_f64 v[38:39], v[38:39], v[42:43]
	v_mul_f64 v[204:205], v[194:195], s[44:45]
	v_fma_f64 v[222:223], v[6:7], s[10:11], -v[220:221]
	v_add_f64 v[46:47], v[226:227], v[46:47]
	v_add_f64 v[212:213], v[26:27], v[24:25]
	v_mul_f64 v[24:25], v[242:243], s[30:31]
	v_fma_f64 v[30:31], s[2:3], v[236:237], v[28:29]
	v_add_f64 v[34:35], v[34:35], v[38:39]
	v_mul_f64 v[42:43], v[188:189], s[40:41]
	v_fma_f64 v[216:217], v[4:5], s[18:19], -v[204:205]
	v_add_f64 v[46:47], v[222:223], v[46:47]
	v_fma_f64 v[26:27], s[22:23], v[234:235], v[24:25]
	v_add_f64 v[30:31], v[30:31], v[34:35]
	v_mul_f64 v[34:35], v[190:191], s[42:43]
	v_fma_f64 v[198:199], v[186:187], s[24:25], -v[42:43]
	v_add_f64 v[46:47], v[216:217], v[46:47]
	v_add_f64 v[218:219], v[26:27], v[30:31]
	v_mul_f64 v[26:27], v[228:229], s[30:31]
	v_fma_f64 v[38:39], v[184:185], s[2:3], -v[34:35]
	v_add_f64 v[46:47], v[198:199], v[46:47]
	v_fma_f64 v[30:31], v[2:3], s[22:23], -v[26:27]
	v_add_f64 v[38:39], v[38:39], v[46:47]
	;; [unrolled: 2-line block ×3, first 2 shown]
	v_fma_f64 v[30:31], v[238:239], s[24:25], -v[32:33]
	v_fma_f64 v[32:33], v[240:241], s[18:19], -v[36:37]
	;; [unrolled: 1-line block ×4, first 2 shown]
	v_add_f64 v[46:47], v[130:131], v[46:47]
	v_fma_f64 v[38:39], v[248:249], s[28:29], -v[196:197]
	v_add_f64 v[40:41], v[40:41], v[46:47]
	v_add_f64 v[38:39], v[38:39], v[40:41]
	;; [unrolled: 1-line block ×4, first 2 shown]
	v_fma_f64 v[28:29], v[236:237], s[2:3], -v[28:29]
	v_add_f64 v[30:31], v[30:31], v[32:33]
	v_fma_f64 v[24:25], v[234:235], s[22:23], -v[24:25]
	v_add_f64 v[28:29], v[28:29], v[30:31]
	v_fmac_f64_e32 v[48:49], s[14:15], v[14:15]
	v_add_f64 v[226:227], v[24:25], v[28:29]
	v_fmac_f64_e32 v[44:45], s[16:17], v[12:13]
	;; [unrolled: 2-line block ×3, first 2 shown]
	v_add_f64 v[24:25], v[44:45], v[24:25]
	v_mul_f64 v[196:197], v[18:19], s[46:47]
	v_fmac_f64_e32 v[220:221], s[10:11], v[6:7]
	v_add_f64 v[24:25], v[224:225], v[24:25]
	v_mul_f64 v[48:49], v[16:17], s[42:43]
	v_fma_f64 v[198:199], s[18:19], v[232:233], v[196:197]
	v_accvgpr_write_b32 a93, v55
	v_fmac_f64_e32 v[204:205], s[18:19], v[4:5]
	v_add_f64 v[24:25], v[220:221], v[24:25]
	v_mul_f64 v[44:45], v[8:9], s[26:27]
	v_fma_f64 v[50:51], s[2:3], v[252:253], v[48:49]
	v_add_f64 v[198:199], v[130:131], v[198:199]
	v_accvgpr_write_b32 a5, v56
	v_accvgpr_write_b32 a38, v57
	v_mul_f64 v[56:57], v[22:23], s[46:47]
	v_accvgpr_write_b32 a92, v54
	v_accvgpr_write_b32 a91, v53
	;; [unrolled: 1-line block ×3, first 2 shown]
	v_fmac_f64_e32 v[42:43], s[24:25], v[186:187]
	v_add_f64 v[24:25], v[204:205], v[24:25]
	v_mul_f64 v[40:41], v[0:1], s[34:35]
	v_fma_f64 v[46:47], s[16:17], v[248:249], v[44:45]
	v_add_f64 v[50:51], v[50:51], v[198:199]
	v_mul_f64 v[52:53], v[20:21], s[42:43]
	v_fma_f64 v[58:59], v[14:15], s[18:19], -v[56:57]
	v_add_f64 v[24:25], v[42:43], v[24:25]
	v_mul_f64 v[36:37], v[254:255], s[56:57]
	v_fma_f64 v[42:43], s[28:29], v[244:245], v[40:41]
	v_add_f64 v[46:47], v[46:47], v[50:51]
	v_mul_f64 v[206:207], v[230:231], s[26:27]
	v_fma_f64 v[54:55], v[12:13], s[2:3], -v[52:53]
	v_add_f64 v[58:59], v[128:129], v[58:59]
	v_fmac_f64_e32 v[34:35], s[2:3], v[184:185]
	v_mul_f64 v[32:33], v[250:251], s[52:53]
	v_fma_f64 v[38:39], s[22:23], v[240:241], v[36:37]
	v_add_f64 v[42:43], v[42:43], v[46:47]
	v_mul_f64 v[202:203], v[192:193], s[34:35]
	v_fma_f64 v[220:221], v[10:11], s[16:17], -v[206:207]
	v_add_f64 v[54:55], v[54:55], v[58:59]
	v_fmac_f64_e32 v[26:27], s[22:23], v[2:3]
	v_add_f64 v[24:25], v[34:35], v[24:25]
	v_mul_f64 v[28:29], v[246:247], s[36:37]
	v_fma_f64 v[34:35], s[10:11], v[238:239], v[32:33]
	v_add_f64 v[38:39], v[38:39], v[42:43]
	v_mul_f64 v[50:51], v[194:195], s[56:57]
	v_fma_f64 v[204:205], v[6:7], s[28:29], -v[202:203]
	v_add_f64 v[54:55], v[220:221], v[54:55]
	v_add_f64 v[224:225], v[26:27], v[24:25]
	v_mul_f64 v[24:25], v[242:243], s[38:39]
	v_fma_f64 v[30:31], s[14:15], v[236:237], v[28:29]
	v_add_f64 v[34:35], v[34:35], v[38:39]
	v_mul_f64 v[42:43], v[188:189], s[52:53]
	v_fma_f64 v[198:199], v[4:5], s[22:23], -v[50:51]
	v_add_f64 v[54:55], v[204:205], v[54:55]
	v_fma_f64 v[26:27], s[24:25], v[234:235], v[24:25]
	v_add_f64 v[30:31], v[30:31], v[34:35]
	v_mul_f64 v[34:35], v[190:191], s[36:37]
	v_fma_f64 v[46:47], v[186:187], s[10:11], -v[42:43]
	v_add_f64 v[54:55], v[198:199], v[54:55]
	v_add_f64 v[222:223], v[26:27], v[30:31]
	v_mul_f64 v[26:27], v[228:229], s[38:39]
	v_fma_f64 v[38:39], v[184:185], s[14:15], -v[34:35]
	v_add_f64 v[46:47], v[46:47], v[54:55]
	v_fma_f64 v[30:31], v[2:3], s[24:25], -v[26:27]
	v_add_f64 v[38:39], v[38:39], v[46:47]
	v_add_f64 v[220:221], v[30:31], v[38:39]
	v_fma_f64 v[38:39], v[248:249], s[16:17], -v[44:45]
	v_fma_f64 v[44:45], v[232:233], s[18:19], -v[196:197]
	v_fma_f64 v[30:31], v[238:239], s[10:11], -v[32:33]
	v_fma_f64 v[32:33], v[240:241], s[22:23], -v[36:37]
	v_fma_f64 v[36:37], v[244:245], s[28:29], -v[40:41]
	v_fma_f64 v[40:41], v[252:253], s[2:3], -v[48:49]
	v_add_f64 v[44:45], v[130:131], v[44:45]
	v_add_f64 v[40:41], v[40:41], v[44:45]
	;; [unrolled: 1-line block ×5, first 2 shown]
	v_fma_f64 v[28:29], v[236:237], s[14:15], -v[28:29]
	v_add_f64 v[30:31], v[30:31], v[32:33]
	v_fma_f64 v[24:25], v[234:235], s[24:25], -v[24:25]
	v_add_f64 v[28:29], v[28:29], v[30:31]
	v_fmac_f64_e32 v[56:57], s[18:19], v[14:15]
	v_add_f64 v[198:199], v[24:25], v[28:29]
	v_fmac_f64_e32 v[52:53], s[2:3], v[12:13]
	;; [unrolled: 2-line block ×4, first 2 shown]
	v_add_f64 v[24:25], v[206:207], v[24:25]
	v_mul_f64 v[46:47], v[18:19], s[40:41]
	v_fmac_f64_e32 v[50:51], s[22:23], v[4:5]
	v_add_f64 v[24:25], v[202:203], v[24:25]
	v_mul_f64 v[44:45], v[16:17], s[46:47]
	v_fma_f64 v[18:19], s[24:25], v[232:233], v[46:47]
	v_fmac_f64_e32 v[42:43], s[10:11], v[186:187]
	v_add_f64 v[24:25], v[50:51], v[24:25]
	v_mul_f64 v[8:9], v[8:9], s[50:51]
	v_fma_f64 v[16:17], s[18:19], v[252:253], v[44:45]
	v_add_f64 v[18:19], v[130:131], v[18:19]
	v_add_f64 v[24:25], v[42:43], v[24:25]
	v_mul_f64 v[0:1], v[0:1], s[42:43]
	v_fma_f64 v[42:43], s[14:15], v[248:249], v[8:9]
	v_add_f64 v[16:17], v[16:17], v[18:19]
	v_mul_f64 v[36:37], v[254:255], s[20:21]
	v_fma_f64 v[40:41], s[2:3], v[244:245], v[0:1]
	v_add_f64 v[16:17], v[42:43], v[16:17]
	v_fma_f64 v[38:39], s[10:11], v[240:241], v[36:37]
	v_add_f64 v[16:17], v[40:41], v[16:17]
	v_mul_f64 v[22:23], v[22:23], s[40:41]
	v_add_f64 v[16:17], v[38:39], v[16:17]
	v_mul_f64 v[38:39], v[188:189], s[26:27]
	v_mul_f64 v[20:21], v[20:21], s[46:47]
	v_fma_f64 v[188:189], v[14:15], s[24:25], -v[22:23]
	v_mul_f64 v[54:55], v[230:231], s[50:51]
	v_fma_f64 v[58:59], v[12:13], s[18:19], -v[20:21]
	v_add_f64 v[188:189], v[128:129], v[188:189]
	v_fmac_f64_e32 v[34:35], s[14:15], v[184:185]
	v_mul_f64 v[32:33], v[250:251], s[26:27]
	v_mul_f64 v[50:51], v[192:193], s[42:43]
	v_fma_f64 v[56:57], v[10:11], s[14:15], -v[54:55]
	v_add_f64 v[58:59], v[58:59], v[188:189]
	v_fmac_f64_e32 v[26:27], s[24:25], v[2:3]
	v_add_f64 v[24:25], v[34:35], v[24:25]
	v_mul_f64 v[28:29], v[246:247], s[30:31]
	v_fma_f64 v[34:35], s[16:17], v[238:239], v[32:33]
	v_mul_f64 v[42:43], v[194:195], s[20:21]
	v_fma_f64 v[52:53], v[6:7], s[2:3], -v[50:51]
	v_add_f64 v[56:57], v[56:57], v[58:59]
	v_add_f64 v[196:197], v[26:27], v[24:25]
	v_mul_f64 v[24:25], v[242:243], s[34:35]
	v_fma_f64 v[30:31], s[22:23], v[236:237], v[28:29]
	v_add_f64 v[16:17], v[34:35], v[16:17]
	v_fma_f64 v[48:49], v[4:5], s[10:11], -v[42:43]
	v_add_f64 v[52:53], v[52:53], v[56:57]
	v_fma_f64 v[26:27], s[28:29], v[234:235], v[24:25]
	v_add_f64 v[16:17], v[30:31], v[16:17]
	v_mul_f64 v[30:31], v[190:191], s[30:31]
	v_fma_f64 v[40:41], v[186:187], s[16:17], -v[38:39]
	v_add_f64 v[48:49], v[48:49], v[52:53]
	v_add_f64 v[18:19], v[26:27], v[16:17]
	v_mul_f64 v[26:27], v[228:229], s[34:35]
	v_fma_f64 v[34:35], v[184:185], s[22:23], -v[30:31]
	v_add_f64 v[40:41], v[40:41], v[48:49]
	v_fma_f64 v[16:17], v[2:3], s[28:29], -v[26:27]
	v_add_f64 v[34:35], v[34:35], v[40:41]
	;; [unrolled: 2-line block ×3, first 2 shown]
	v_fma_f64 v[34:35], v[240:241], s[10:11], -v[36:37]
	v_fma_f64 v[36:37], v[252:253], s[18:19], -v[44:45]
	v_add_f64 v[40:41], v[130:131], v[40:41]
	v_fma_f64 v[8:9], v[248:249], s[14:15], -v[8:9]
	v_add_f64 v[36:37], v[36:37], v[40:41]
	;; [unrolled: 2-line block ×3, first 2 shown]
	v_add_f64 v[0:1], v[0:1], v[8:9]
	v_fma_f64 v[32:33], v[238:239], s[16:17], -v[32:33]
	v_add_f64 v[0:1], v[34:35], v[0:1]
	v_fma_f64 v[28:29], v[236:237], s[22:23], -v[28:29]
	;; [unrolled: 2-line block ×3, first 2 shown]
	v_add_f64 v[0:1], v[28:29], v[0:1]
	v_fmac_f64_e32 v[22:23], s[24:25], v[14:15]
	v_add_f64 v[8:9], v[24:25], v[0:1]
	v_fmac_f64_e32 v[20:21], s[18:19], v[12:13]
	;; [unrolled: 2-line block ×8, first 2 shown]
	v_add_f64 v[0:1], v[30:31], v[0:1]
	v_add_f64 v[6:7], v[26:27], v[0:1]
	;; [unrolled: 1-line block ×31, first 2 shown]
	v_accvgpr_read_b32 v204, a0
	v_add_f64 v[0:1], v[68:69], v[0:1]
	v_add_f64 v[0:1], v[64:65], v[0:1]
	v_mul_lo_u16_e32 v4, 17, v204
	v_accvgpr_read_b32 v5, a76
	v_accvgpr_read_b32 v195, a37
	;; [unrolled: 1-line block ×15, first 2 shown]
	v_add_f64 v[0:1], v[60:61], v[0:1]
	v_accvgpr_read_b32 v61, a43
	v_lshl_add_u32 v4, v4, 4, v5
	v_accvgpr_read_b32 v206, a2
	v_accvgpr_read_b32 v194, a36
	;; [unrolled: 1-line block ×50, first 2 shown]
	ds_write_b128 v4, v[0:3]
	ds_write_b128 v4, v[6:9] offset:16
	ds_write_b128 v4, v[196:199] offset:32
	v_accvgpr_read_b32 v199, a70
	v_accvgpr_read_b32 v198, a69
	v_accvgpr_read_b32 v197, a3
	v_accvgpr_read_b32 v196, a1
	ds_write_b128 v4, v[224:227] offset:48
	ds_write_b128 v4, v[212:215] offset:64
	;; [unrolled: 1-line block ×3, first 2 shown]
	v_accvgpr_read_b32 v176, a71
	ds_write_b128 v4, a[94:97] offset:96
	ds_write_b128 v4, a[86:89] offset:112
	;; [unrolled: 1-line block ×8, first 2 shown]
	v_accvgpr_read_b32 v208, a4
	ds_write_b128 v4, v[216:219] offset:224
	ds_write_b128 v4, v[220:223] offset:240
	ds_write_b128 v4, v[16:19] offset:256
.LBB0_13:
	s_or_b64 exec, exec, s[0:1]
	s_waitcnt lgkmcnt(0)
	s_barrier
	ds_read_b128 v[0:3], v200
	ds_read_b128 v[4:7], v200 offset:1632
	ds_read_b128 v[16:19], v200 offset:6528
	;; [unrolled: 1-line block ×11, first 2 shown]
	s_waitcnt lgkmcnt(9)
	v_mul_f64 v[24:25], v[38:39], v[18:19]
	v_fmac_f64_e32 v[24:25], v[36:37], v[16:17]
	v_mul_f64 v[16:17], v[38:39], v[16:17]
	v_fma_f64 v[26:27], v[36:37], v[18:19], -v[16:17]
	s_waitcnt lgkmcnt(7)
	v_mul_f64 v[16:17], v[34:35], v[128:129]
	v_fma_f64 v[30:31], v[32:33], v[130:131], -v[16:17]
	v_mul_f64 v[16:17], v[46:47], v[20:21]
	v_mul_f64 v[28:29], v[34:35], v[130:131]
	v_fma_f64 v[34:35], v[44:45], v[22:23], -v[16:17]
	s_waitcnt lgkmcnt(6)
	v_mul_f64 v[16:17], v[42:43], v[132:133]
	v_fma_f64 v[38:39], v[40:41], v[134:135], -v[16:17]
	s_waitcnt lgkmcnt(3)
	v_mul_f64 v[16:17], v[186:187], v[136:137]
	v_mul_f64 v[36:37], v[42:43], v[134:135]
	v_fma_f64 v[42:43], v[184:185], v[138:139], -v[16:17]
	s_waitcnt lgkmcnt(1)
	v_mul_f64 v[16:17], v[50:51], v[144:145]
	v_fmac_f64_e32 v[28:29], v[32:33], v[128:129]
	v_mul_f64 v[32:33], v[46:47], v[22:23]
	v_fma_f64 v[46:47], v[48:49], v[146:147], -v[16:17]
	v_mul_f64 v[16:17], v[194:195], v[140:141]
	v_fmac_f64_e32 v[32:33], v[44:45], v[20:21]
	v_mul_f64 v[44:45], v[50:51], v[146:147]
	v_fma_f64 v[50:51], v[192:193], v[142:143], -v[16:17]
	s_waitcnt lgkmcnt(0)
	v_mul_f64 v[16:17], v[190:191], v[148:149]
	v_add_f64 v[18:19], v[24:25], v[28:29]
	s_mov_b32 s2, 0xe8584caa
	v_fmac_f64_e32 v[36:37], v[40:41], v[132:133]
	v_fma_f64 v[54:55], v[188:189], v[150:151], -v[16:17]
	v_add_f64 v[16:17], v[0:1], v[24:25]
	v_fmac_f64_e32 v[0:1], -0.5, v[18:19]
	v_add_f64 v[18:19], v[26:27], -v[30:31]
	s_mov_b32 s3, 0xbfebb67a
	s_mov_b32 s1, 0x3febb67a
	s_mov_b32 s0, s2
	v_add_f64 v[22:23], v[26:27], v[30:31]
	v_mul_f64 v[40:41], v[186:187], v[138:139]
	v_fma_f64 v[20:21], s[2:3], v[18:19], v[0:1]
	v_fmac_f64_e32 v[0:1], s[0:1], v[18:19]
	v_add_f64 v[18:19], v[2:3], v[26:27]
	v_fmac_f64_e32 v[2:3], -0.5, v[22:23]
	v_add_f64 v[24:25], v[24:25], -v[28:29]
	v_add_f64 v[26:27], v[32:33], v[36:37]
	v_fmac_f64_e32 v[40:41], v[184:185], v[136:137]
	v_fmac_f64_e32 v[44:45], v[48:49], v[144:145]
	v_add_f64 v[18:19], v[18:19], v[30:31]
	v_fma_f64 v[22:23], s[0:1], v[24:25], v[2:3]
	v_fmac_f64_e32 v[2:3], s[2:3], v[24:25]
	v_add_f64 v[24:25], v[4:5], v[32:33]
	v_fmac_f64_e32 v[4:5], -0.5, v[26:27]
	v_add_f64 v[26:27], v[34:35], -v[38:39]
	v_add_f64 v[30:31], v[34:35], v[38:39]
	v_mul_f64 v[48:49], v[194:195], v[142:143]
	v_mul_f64 v[52:53], v[190:191], v[150:151]
	v_add_f64 v[16:17], v[16:17], v[28:29]
	v_fma_f64 v[28:29], s[2:3], v[26:27], v[4:5]
	v_fmac_f64_e32 v[4:5], s[0:1], v[26:27]
	v_add_f64 v[26:27], v[6:7], v[34:35]
	v_fmac_f64_e32 v[6:7], -0.5, v[30:31]
	v_add_f64 v[32:33], v[32:33], -v[36:37]
	v_add_f64 v[34:35], v[40:41], v[44:45]
	v_fmac_f64_e32 v[48:49], v[192:193], v[140:141]
	v_fmac_f64_e32 v[52:53], v[188:189], v[148:149]
	v_add_f64 v[26:27], v[26:27], v[38:39]
	v_fma_f64 v[30:31], s[0:1], v[32:33], v[6:7]
	v_fmac_f64_e32 v[6:7], s[2:3], v[32:33]
	v_add_f64 v[32:33], v[8:9], v[40:41]
	v_fmac_f64_e32 v[8:9], -0.5, v[34:35]
	v_add_f64 v[34:35], v[42:43], -v[46:47]
	v_add_f64 v[38:39], v[42:43], v[46:47]
	v_add_f64 v[24:25], v[24:25], v[36:37]
	v_fma_f64 v[36:37], s[2:3], v[34:35], v[8:9]
	v_fmac_f64_e32 v[8:9], s[0:1], v[34:35]
	v_add_f64 v[34:35], v[10:11], v[42:43]
	v_fmac_f64_e32 v[10:11], -0.5, v[38:39]
	v_add_f64 v[40:41], v[40:41], -v[44:45]
	v_add_f64 v[42:43], v[48:49], v[52:53]
	;; [unrolled: 7-line block ×4, first 2 shown]
	v_add_f64 v[42:43], v[42:43], v[54:55]
	v_fma_f64 v[46:47], s[0:1], v[48:49], v[14:15]
	v_fmac_f64_e32 v[14:15], s[2:3], v[48:49]
	s_barrier
	ds_write_b128 v196, v[16:19]
	ds_write_b128 v196, v[20:23] offset:272
	ds_write_b128 v196, v[0:3] offset:544
	ds_write_b128 v197, v[24:27]
	ds_write_b128 v197, v[28:31] offset:272
	ds_write_b128 v197, v[4:7] offset:544
	ds_write_b128 v56, v[32:35]
	ds_write_b128 v56, v[36:39] offset:272
	ds_write_b128 v56, v[8:11] offset:544
	ds_write_b128 v57, v[40:43]
	ds_write_b128 v57, v[44:47] offset:272
	ds_write_b128 v57, v[12:15] offset:544
	s_waitcnt lgkmcnt(0)
	s_barrier
	ds_read_b128 v[0:3], v200
	ds_read_b128 v[4:7], v200 offset:1632
	ds_read_b128 v[8:11], v200 offset:9792
	;; [unrolled: 1-line block ×11, first 2 shown]
	s_waitcnt lgkmcnt(7)
	v_mul_f64 v[48:49], v[64:65], v[18:19]
	v_fmac_f64_e32 v[48:49], v[62:63], v[16:17]
	v_mul_f64 v[16:17], v[64:65], v[16:17]
	v_fma_f64 v[16:17], v[62:63], v[18:19], -v[16:17]
	v_mul_f64 v[18:19], v[60:61], v[10:11]
	v_fmac_f64_e32 v[18:19], v[58:59], v[8:9]
	v_mul_f64 v[8:9], v[60:61], v[8:9]
	v_fma_f64 v[8:9], v[58:59], v[10:11], -v[8:9]
	s_waitcnt lgkmcnt(3)
	v_mul_f64 v[10:11], v[68:69], v[34:35]
	v_fmac_f64_e32 v[10:11], v[66:67], v[32:33]
	v_mul_f64 v[32:33], v[68:69], v[32:33]
	v_fma_f64 v[32:33], v[66:67], v[34:35], -v[32:33]
	v_mul_f64 v[34:35], v[230:231], v[26:27]
	v_fmac_f64_e32 v[34:35], v[228:229], v[24:25]
	v_mul_f64 v[24:25], v[230:231], v[24:25]
	v_fma_f64 v[24:25], v[228:229], v[26:27], -v[24:25]
	;; [unrolled: 4-line block ×3, first 2 shown]
	s_waitcnt lgkmcnt(1)
	v_mul_f64 v[52:53], v[72:73], v[42:43]
	v_mul_f64 v[12:13], v[72:73], v[40:41]
	v_fmac_f64_e32 v[52:53], v[70:71], v[40:41]
	v_fma_f64 v[40:41], v[70:71], v[42:43], -v[12:13]
	v_mul_f64 v[12:13], v[86:87], v[28:29]
	v_mul_f64 v[42:43], v[86:87], v[30:31]
	v_fma_f64 v[54:55], v[84:85], v[30:31], -v[12:13]
	v_mul_f64 v[56:57], v[82:83], v[38:39]
	v_mul_f64 v[12:13], v[82:83], v[36:37]
	v_fmac_f64_e32 v[42:43], v[84:85], v[28:29]
	v_fmac_f64_e32 v[56:57], v[80:81], v[36:37]
	v_fma_f64 v[36:37], v[80:81], v[38:39], -v[12:13]
	s_waitcnt lgkmcnt(0)
	v_mul_f64 v[38:39], v[234:235], v[46:47]
	v_mul_f64 v[12:13], v[234:235], v[44:45]
	v_add_f64 v[28:29], v[2:3], -v[8:9]
	v_add_f64 v[30:31], v[16:17], -v[32:33]
	v_fmac_f64_e32 v[38:39], v[232:233], v[44:45]
	v_fma_f64 v[44:45], v[232:233], v[46:47], -v[12:13]
	v_fma_f64 v[12:13], v[2:3], 2.0, -v[28:29]
	v_fma_f64 v[2:3], v[16:17], 2.0, -v[30:31]
	v_add_f64 v[18:19], v[0:1], -v[18:19]
	v_add_f64 v[14:15], v[48:49], -v[10:11]
	;; [unrolled: 1-line block ×3, first 2 shown]
	v_fma_f64 v[8:9], v[0:1], 2.0, -v[18:19]
	v_fma_f64 v[0:1], v[48:49], 2.0, -v[14:15]
	v_fma_f64 v[10:11], v[12:13], 2.0, -v[2:3]
	v_add_f64 v[12:13], v[18:19], v[30:31]
	v_add_f64 v[14:15], v[28:29], -v[14:15]
	v_add_f64 v[32:33], v[4:5], -v[26:27]
	;; [unrolled: 1-line block ×5, first 2 shown]
	v_fma_f64 v[16:17], v[18:19], 2.0, -v[12:13]
	v_fma_f64 v[18:19], v[28:29], 2.0, -v[14:15]
	;; [unrolled: 1-line block ×6, first 2 shown]
	v_add_f64 v[4:5], v[26:27], -v[4:5]
	v_add_f64 v[6:7], v[28:29], -v[6:7]
	;; [unrolled: 1-line block ×5, first 2 shown]
	v_fma_f64 v[24:25], v[26:27], 2.0, -v[4:5]
	v_fma_f64 v[26:27], v[28:29], 2.0, -v[6:7]
	v_add_f64 v[28:29], v[32:33], v[40:41]
	v_fma_f64 v[34:35], v[46:47], 2.0, -v[30:31]
	v_add_f64 v[46:47], v[20:21], -v[56:57]
	v_fma_f64 v[40:41], v[22:23], 2.0, -v[48:49]
	v_add_f64 v[50:51], v[42:43], -v[38:39]
	v_fma_f64 v[22:23], v[54:55], 2.0, -v[44:45]
	v_fma_f64 v[36:37], v[20:21], 2.0, -v[46:47]
	;; [unrolled: 1-line block ×3, first 2 shown]
	v_add_f64 v[22:23], v[40:41], -v[22:23]
	v_add_f64 v[0:1], v[8:9], -v[0:1]
	;; [unrolled: 1-line block ×3, first 2 shown]
	v_fma_f64 v[38:39], v[40:41], 2.0, -v[22:23]
	v_add_f64 v[40:41], v[46:47], v[44:45]
	v_add_f64 v[42:43], v[48:49], -v[50:51]
	v_fma_f64 v[8:9], v[8:9], 2.0, -v[0:1]
	v_fma_f64 v[32:33], v[32:33], 2.0, -v[28:29]
	;; [unrolled: 1-line block ×5, first 2 shown]
	s_barrier
	ds_write_b128 v78, v[8:11]
	ds_write_b128 v78, v[16:19] offset:816
	ds_write_b128 v78, v[0:3] offset:1632
	ds_write_b128 v78, v[12:15] offset:2448
	ds_write_b128 v79, v[24:27]
	ds_write_b128 v79, v[32:35] offset:816
	ds_write_b128 v79, v[4:7] offset:1632
	ds_write_b128 v79, v[28:31] offset:2448
	;; [unrolled: 4-line block ×3, first 2 shown]
	s_waitcnt lgkmcnt(0)
	s_barrier
	ds_read_b128 v[4:7], v200
	ds_read_b128 v[0:3], v200 offset:1632
	ds_read_b128 v[8:11], v200 offset:3264
	;; [unrolled: 1-line block ×11, first 2 shown]
	s_waitcnt lgkmcnt(9)
	v_mul_f64 v[48:49], v[102:103], v[10:11]
	v_fmac_f64_e32 v[48:49], v[100:101], v[8:9]
	v_mul_f64 v[8:9], v[102:103], v[8:9]
	v_fma_f64 v[50:51], v[100:101], v[10:11], -v[8:9]
	s_waitcnt lgkmcnt(7)
	v_mul_f64 v[8:9], v[98:99], v[18:19]
	v_fmac_f64_e32 v[8:9], v[96:97], v[16:17]
	v_mul_f64 v[10:11], v[98:99], v[16:17]
	s_waitcnt lgkmcnt(5)
	v_mul_f64 v[16:17], v[94:95], v[26:27]
	v_fma_f64 v[10:11], v[96:97], v[18:19], -v[10:11]
	v_fmac_f64_e32 v[16:17], v[92:93], v[24:25]
	v_mul_f64 v[18:19], v[94:95], v[24:25]
	s_waitcnt lgkmcnt(3)
	v_mul_f64 v[24:25], v[90:91], v[34:35]
	v_fma_f64 v[18:19], v[92:93], v[26:27], -v[18:19]
	v_fmac_f64_e32 v[24:25], v[88:89], v[32:33]
	v_mul_f64 v[26:27], v[90:91], v[32:33]
	s_waitcnt lgkmcnt(1)
	v_mul_f64 v[32:33], v[106:107], v[42:43]
	v_fma_f64 v[26:27], v[88:89], v[34:35], -v[26:27]
	v_fmac_f64_e32 v[32:33], v[104:105], v[40:41]
	v_mul_f64 v[34:35], v[106:107], v[40:41]
	v_mul_f64 v[40:41], v[122:123], v[14:15]
	v_fmac_f64_e32 v[40:41], v[120:121], v[12:13]
	v_mul_f64 v[12:13], v[122:123], v[12:13]
	v_fma_f64 v[34:35], v[104:105], v[42:43], -v[34:35]
	v_fma_f64 v[42:43], v[120:121], v[14:15], -v[12:13]
	v_mul_f64 v[12:13], v[118:119], v[20:21]
	v_fma_f64 v[54:55], v[116:117], v[22:23], -v[12:13]
	v_mul_f64 v[56:57], v[114:115], v[30:31]
	v_mul_f64 v[12:13], v[114:115], v[28:29]
	v_fmac_f64_e32 v[56:57], v[112:113], v[28:29]
	v_fma_f64 v[28:29], v[112:113], v[30:31], -v[12:13]
	v_mul_f64 v[30:31], v[110:111], v[38:39]
	v_mul_f64 v[12:13], v[110:111], v[36:37]
	v_fmac_f64_e32 v[30:31], v[108:109], v[36:37]
	v_fma_f64 v[36:37], v[108:109], v[38:39], -v[12:13]
	s_waitcnt lgkmcnt(0)
	v_mul_f64 v[38:39], v[126:127], v[46:47]
	v_mul_f64 v[12:13], v[126:127], v[44:45]
	;; [unrolled: 1-line block ×3, first 2 shown]
	v_fmac_f64_e32 v[38:39], v[124:125], v[44:45]
	v_fma_f64 v[44:45], v[124:125], v[46:47], -v[12:13]
	v_add_f64 v[12:13], v[4:5], v[8:9]
	v_fmac_f64_e32 v[52:53], v[116:117], v[20:21]
	v_add_f64 v[20:21], v[12:13], v[24:25]
	v_add_f64 v[12:13], v[8:9], v[24:25]
	v_fmac_f64_e32 v[4:5], -0.5, v[12:13]
	v_add_f64 v[12:13], v[10:11], -v[26:27]
	v_fma_f64 v[22:23], s[2:3], v[12:13], v[4:5]
	v_fmac_f64_e32 v[4:5], s[0:1], v[12:13]
	v_add_f64 v[12:13], v[6:7], v[10:11]
	v_add_f64 v[10:11], v[10:11], v[26:27]
	v_fmac_f64_e32 v[6:7], -0.5, v[10:11]
	v_add_f64 v[8:9], v[8:9], -v[24:25]
	v_add_f64 v[46:47], v[12:13], v[26:27]
	v_fma_f64 v[26:27], s[0:1], v[8:9], v[6:7]
	v_fmac_f64_e32 v[6:7], s[2:3], v[8:9]
	v_add_f64 v[8:9], v[48:49], v[16:17]
	v_add_f64 v[24:25], v[8:9], v[32:33]
	v_add_f64 v[8:9], v[16:17], v[32:33]
	v_fmac_f64_e32 v[48:49], -0.5, v[8:9]
	v_add_f64 v[8:9], v[18:19], -v[34:35]
	v_fma_f64 v[14:15], s[2:3], v[8:9], v[48:49]
	v_fmac_f64_e32 v[48:49], s[0:1], v[8:9]
	v_add_f64 v[8:9], v[50:51], v[18:19]
	v_add_f64 v[58:59], v[8:9], v[34:35]
	;; [unrolled: 1-line block ×3, first 2 shown]
	v_fmac_f64_e32 v[50:51], -0.5, v[8:9]
	v_add_f64 v[8:9], v[16:17], -v[32:33]
	v_fma_f64 v[18:19], s[0:1], v[8:9], v[50:51]
	v_mul_f64 v[32:33], v[18:19], s[2:3]
	v_fmac_f64_e32 v[32:33], 0.5, v[14:15]
	v_fmac_f64_e32 v[50:51], s[2:3], v[8:9]
	v_add_f64 v[8:9], v[20:21], v[24:25]
	v_add_f64 v[12:13], v[22:23], v[32:33]
	v_add_f64 v[20:21], v[20:21], -v[24:25]
	v_add_f64 v[24:25], v[22:23], -v[32:33]
	v_add_f64 v[32:33], v[0:1], v[52:53]
	v_add_f64 v[10:11], v[46:47], v[58:59]
	v_add_f64 v[22:23], v[46:47], -v[58:59]
	v_add_f64 v[46:47], v[32:33], v[30:31]
	v_add_f64 v[32:33], v[52:53], v[30:31]
	v_mul_f64 v[34:35], v[50:51], s[2:3]
	v_mul_f64 v[50:51], v[50:51], -0.5
	v_fmac_f64_e32 v[0:1], -0.5, v[32:33]
	v_add_f64 v[32:33], v[54:55], -v[36:37]
	v_fmac_f64_e32 v[34:35], -0.5, v[48:49]
	v_fmac_f64_e32 v[50:51], s[0:1], v[48:49]
	v_fma_f64 v[48:49], s[2:3], v[32:33], v[0:1]
	v_fmac_f64_e32 v[0:1], s[0:1], v[32:33]
	v_add_f64 v[32:33], v[2:3], v[54:55]
	v_mul_f64 v[60:61], v[18:19], 0.5
	v_add_f64 v[18:19], v[6:7], v[50:51]
	v_add_f64 v[6:7], v[6:7], -v[50:51]
	v_add_f64 v[50:51], v[32:33], v[36:37]
	v_add_f64 v[32:33], v[54:55], v[36:37]
	v_fmac_f64_e32 v[2:3], -0.5, v[32:33]
	v_add_f64 v[30:31], v[52:53], -v[30:31]
	v_fma_f64 v[52:53], s[0:1], v[30:31], v[2:3]
	v_fmac_f64_e32 v[2:3], s[2:3], v[30:31]
	v_add_f64 v[30:31], v[40:41], v[56:57]
	v_add_f64 v[54:55], v[30:31], v[38:39]
	;; [unrolled: 1-line block ×3, first 2 shown]
	v_fmac_f64_e32 v[40:41], -0.5, v[30:31]
	v_add_f64 v[30:31], v[28:29], -v[44:45]
	v_add_f64 v[16:17], v[4:5], v[34:35]
	v_add_f64 v[4:5], v[4:5], -v[34:35]
	v_fma_f64 v[34:35], s[2:3], v[30:31], v[40:41]
	v_fmac_f64_e32 v[40:41], s[0:1], v[30:31]
	v_add_f64 v[30:31], v[42:43], v[28:29]
	v_add_f64 v[28:29], v[28:29], v[44:45]
	v_fmac_f64_e32 v[42:43], -0.5, v[28:29]
	v_add_f64 v[28:29], v[56:57], -v[38:39]
	v_fmac_f64_e32 v[60:61], s[0:1], v[14:15]
	v_fma_f64 v[38:39], s[0:1], v[28:29], v[42:43]
	v_fmac_f64_e32 v[42:43], s[2:3], v[28:29]
	v_add_f64 v[14:15], v[26:27], v[60:61]
	v_add_f64 v[26:27], v[26:27], -v[60:61]
	v_add_f64 v[58:59], v[30:31], v[44:45]
	v_mul_f64 v[44:45], v[38:39], s[2:3]
	v_mul_f64 v[56:57], v[42:43], s[2:3]
	v_mul_f64 v[60:61], v[38:39], 0.5
	v_mul_f64 v[62:63], v[42:43], -0.5
	v_fmac_f64_e32 v[44:45], 0.5, v[34:35]
	v_fmac_f64_e32 v[56:57], -0.5, v[40:41]
	v_fmac_f64_e32 v[60:61], s[0:1], v[34:35]
	v_fmac_f64_e32 v[62:63], s[0:1], v[40:41]
	v_add_f64 v[28:29], v[46:47], v[54:55]
	v_add_f64 v[32:33], v[48:49], v[44:45]
	;; [unrolled: 1-line block ×6, first 2 shown]
	v_add_f64 v[40:41], v[46:47], -v[54:55]
	v_add_f64 v[44:45], v[48:49], -v[44:45]
	;; [unrolled: 1-line block ×6, first 2 shown]
	ds_write_b128 v199, v[8:11]
	ds_write_b128 v201, v[12:15] offset:3264
	ds_write_b128 v201, v[16:19] offset:6528
	;; [unrolled: 1-line block ×11, first 2 shown]
	s_waitcnt lgkmcnt(0)
	s_barrier
	s_and_b64 exec, exec, vcc
	s_cbranch_execz .LBB0_15
; %bb.14:
	global_load_dwordx4 v[2:5], v206, s[8:9]
	v_mad_u64_u32 v[14:15], s[0:1], s6, v208, 0
	v_mad_u64_u32 v[16:17], s[2:3], s4, v204, 0
	ds_read_b128 v[6:9], v199
	ds_read_b128 v[10:13], v201 offset:1152
	v_mov_b32_e32 v18, v15
	v_mov_b32_e32 v20, v17
	v_mad_u64_u32 v[18:19], s[2:3], s7, v208, v[18:19]
	v_mov_b32_e32 v0, s12
	v_mov_b32_e32 v1, s13
	v_mad_u64_u32 v[20:21], s[2:3], s5, v204, v[20:21]
	v_mov_b32_e32 v15, v18
	v_mov_b32_e32 v17, v20
	v_lshl_add_u64 v[0:1], v[14:15], 4, v[0:1]
	s_mov_b32 s0, 0x1ac5701b
	v_lshl_add_u64 v[14:15], v[16:17], 4, v[0:1]
	s_mov_b32 s1, 0x3f4ac570
	s_mul_i32 s2, s5, 0x480
	v_mov_b32_e32 v207, 0
	s_movk_i32 s3, 0x1000
	s_waitcnt vmcnt(0) lgkmcnt(1)
	v_mul_f64 v[16:17], v[8:9], v[4:5]
	v_mul_f64 v[4:5], v[6:7], v[4:5]
	v_fmac_f64_e32 v[16:17], v[6:7], v[2:3]
	v_fma_f64 v[4:5], v[2:3], v[8:9], -v[4:5]
	v_mul_f64 v[2:3], v[16:17], s[0:1]
	v_mul_f64 v[4:5], v[4:5], s[0:1]
	global_store_dwordx4 v[14:15], v[2:5], off
	global_load_dwordx4 v[6:9], v206, s[8:9] offset:1152
	s_nop 0
	v_mov_b32_e32 v4, 0x480
	v_mad_u64_u32 v[2:3], s[6:7], s4, v4, v[14:15]
	v_add_u32_e32 v3, s2, v3
	v_mad_u64_u32 v[18:19], s[6:7], s4, v4, v[2:3]
	v_add_u32_e32 v19, s2, v19
	s_waitcnt vmcnt(0) lgkmcnt(0)
	v_mul_f64 v[14:15], v[12:13], v[8:9]
	v_mul_f64 v[8:9], v[10:11], v[8:9]
	v_fmac_f64_e32 v[14:15], v[10:11], v[6:7]
	v_fma_f64 v[8:9], v[6:7], v[12:13], -v[8:9]
	v_mul_f64 v[6:7], v[14:15], s[0:1]
	v_mul_f64 v[8:9], v[8:9], s[0:1]
	global_store_dwordx4 v[2:3], v[6:9], off
	global_load_dwordx4 v[6:9], v206, s[8:9] offset:2304
	ds_read_b128 v[10:13], v201 offset:2304
	ds_read_b128 v[14:17], v201 offset:3456
	s_waitcnt vmcnt(0) lgkmcnt(1)
	v_mul_f64 v[2:3], v[12:13], v[8:9]
	v_mul_f64 v[8:9], v[10:11], v[8:9]
	v_fmac_f64_e32 v[2:3], v[10:11], v[6:7]
	v_fma_f64 v[8:9], v[6:7], v[12:13], -v[8:9]
	v_mul_f64 v[6:7], v[2:3], s[0:1]
	v_mul_f64 v[8:9], v[8:9], s[0:1]
	global_store_dwordx4 v[18:19], v[6:9], off
	global_load_dwordx4 v[6:9], v206, s[8:9] offset:3456
	v_lshl_add_u64 v[2:3], s[8:9], 0, v[206:207]
	v_mad_u64_u32 v[18:19], s[6:7], s4, v4, v[18:19]
	v_add_co_u32_e32 v20, vcc, s3, v2
	v_add_u32_e32 v19, s2, v19
	s_nop 0
	v_addc_co_u32_e32 v21, vcc, 0, v3, vcc
	s_movk_i32 s3, 0x2000
	s_waitcnt vmcnt(0) lgkmcnt(0)
	v_mul_f64 v[10:11], v[16:17], v[8:9]
	v_mul_f64 v[8:9], v[14:15], v[8:9]
	v_fmac_f64_e32 v[10:11], v[14:15], v[6:7]
	v_fma_f64 v[8:9], v[6:7], v[16:17], -v[8:9]
	v_mul_f64 v[6:7], v[10:11], s[0:1]
	v_mul_f64 v[8:9], v[8:9], s[0:1]
	global_store_dwordx4 v[18:19], v[6:9], off
	global_load_dwordx4 v[6:9], v[20:21], off offset:512
	ds_read_b128 v[10:13], v201 offset:4608
	ds_read_b128 v[14:17], v201 offset:5760
	v_mad_u64_u32 v[18:19], s[6:7], s4, v4, v[18:19]
	v_add_u32_e32 v19, s2, v19
	s_waitcnt vmcnt(0) lgkmcnt(1)
	v_mul_f64 v[22:23], v[12:13], v[8:9]
	v_mul_f64 v[8:9], v[10:11], v[8:9]
	v_fmac_f64_e32 v[22:23], v[10:11], v[6:7]
	v_fma_f64 v[8:9], v[6:7], v[12:13], -v[8:9]
	v_mul_f64 v[6:7], v[22:23], s[0:1]
	v_mul_f64 v[8:9], v[8:9], s[0:1]
	global_store_dwordx4 v[18:19], v[6:9], off
	global_load_dwordx4 v[6:9], v[20:21], off offset:1664
	v_mad_u64_u32 v[18:19], s[6:7], s4, v4, v[18:19]
	v_add_u32_e32 v19, s2, v19
	s_waitcnt vmcnt(0) lgkmcnt(0)
	v_mul_f64 v[10:11], v[16:17], v[8:9]
	v_mul_f64 v[8:9], v[14:15], v[8:9]
	v_fmac_f64_e32 v[10:11], v[14:15], v[6:7]
	v_fma_f64 v[8:9], v[6:7], v[16:17], -v[8:9]
	v_mul_f64 v[6:7], v[10:11], s[0:1]
	v_mul_f64 v[8:9], v[8:9], s[0:1]
	global_store_dwordx4 v[18:19], v[6:9], off
	global_load_dwordx4 v[6:9], v[20:21], off offset:2816
	ds_read_b128 v[10:13], v201 offset:6912
	ds_read_b128 v[14:17], v201 offset:8064
	v_mad_u64_u32 v[18:19], s[6:7], s4, v4, v[18:19]
	v_add_u32_e32 v19, s2, v19
	s_waitcnt vmcnt(0) lgkmcnt(1)
	v_mul_f64 v[22:23], v[12:13], v[8:9]
	v_mul_f64 v[8:9], v[10:11], v[8:9]
	v_fmac_f64_e32 v[22:23], v[10:11], v[6:7]
	v_fma_f64 v[8:9], v[6:7], v[12:13], -v[8:9]
	v_mul_f64 v[6:7], v[22:23], s[0:1]
	v_mul_f64 v[8:9], v[8:9], s[0:1]
	global_store_dwordx4 v[18:19], v[6:9], off
	global_load_dwordx4 v[6:9], v[20:21], off offset:3968
	v_mad_u64_u32 v[18:19], s[6:7], s4, v4, v[18:19]
	v_add_co_u32_e32 v20, vcc, s3, v2
	v_add_u32_e32 v19, s2, v19
	s_nop 0
	v_addc_co_u32_e32 v21, vcc, 0, v3, vcc
	s_movk_i32 s3, 0x3000
	s_waitcnt vmcnt(0) lgkmcnt(0)
	v_mul_f64 v[10:11], v[16:17], v[8:9]
	v_mul_f64 v[8:9], v[14:15], v[8:9]
	v_fmac_f64_e32 v[10:11], v[14:15], v[6:7]
	v_fma_f64 v[8:9], v[6:7], v[16:17], -v[8:9]
	v_mul_f64 v[6:7], v[10:11], s[0:1]
	v_mul_f64 v[8:9], v[8:9], s[0:1]
	global_store_dwordx4 v[18:19], v[6:9], off
	global_load_dwordx4 v[6:9], v[20:21], off offset:1024
	ds_read_b128 v[10:13], v201 offset:9216
	ds_read_b128 v[14:17], v201 offset:10368
	v_mad_u64_u32 v[18:19], s[6:7], s4, v4, v[18:19]
	v_add_u32_e32 v19, s2, v19
	s_waitcnt vmcnt(0) lgkmcnt(1)
	v_mul_f64 v[22:23], v[12:13], v[8:9]
	v_mul_f64 v[8:9], v[10:11], v[8:9]
	v_fmac_f64_e32 v[22:23], v[10:11], v[6:7]
	v_fma_f64 v[8:9], v[6:7], v[12:13], -v[8:9]
	v_mul_f64 v[6:7], v[22:23], s[0:1]
	v_mul_f64 v[8:9], v[8:9], s[0:1]
	global_store_dwordx4 v[18:19], v[6:9], off
	global_load_dwordx4 v[6:9], v[20:21], off offset:2176
	v_mad_u64_u32 v[18:19], s[6:7], s4, v4, v[18:19]
	v_add_u32_e32 v19, s2, v19
	s_waitcnt vmcnt(0) lgkmcnt(0)
	v_mul_f64 v[10:11], v[16:17], v[8:9]
	v_mul_f64 v[8:9], v[14:15], v[8:9]
	v_fmac_f64_e32 v[10:11], v[14:15], v[6:7]
	v_fma_f64 v[8:9], v[6:7], v[16:17], -v[8:9]
	v_mul_f64 v[6:7], v[10:11], s[0:1]
	v_mul_f64 v[8:9], v[8:9], s[0:1]
	global_store_dwordx4 v[18:19], v[6:9], off
	global_load_dwordx4 v[6:9], v[20:21], off offset:3328
	ds_read_b128 v[10:13], v201 offset:11520
	ds_read_b128 v[14:17], v201 offset:12672
	v_mad_u64_u32 v[18:19], s[6:7], s4, v4, v[18:19]
	v_add_co_u32_e32 v20, vcc, s3, v2
	v_add_u32_e32 v19, s2, v19
	s_nop 0
	v_addc_co_u32_e32 v21, vcc, 0, v3, vcc
	s_movk_i32 s3, 0x4000
	v_add_co_u32_e32 v2, vcc, s3, v2
	s_waitcnt vmcnt(0) lgkmcnt(1)
	v_mul_f64 v[22:23], v[12:13], v[8:9]
	v_mul_f64 v[8:9], v[10:11], v[8:9]
	v_fmac_f64_e32 v[22:23], v[10:11], v[6:7]
	v_fma_f64 v[8:9], v[6:7], v[12:13], -v[8:9]
	v_mul_f64 v[6:7], v[22:23], s[0:1]
	v_mul_f64 v[8:9], v[8:9], s[0:1]
	global_store_dwordx4 v[18:19], v[6:9], off
	global_load_dwordx4 v[6:9], v[20:21], off offset:384
	v_mad_u64_u32 v[18:19], s[6:7], s4, v4, v[18:19]
	v_add_u32_e32 v19, s2, v19
	v_addc_co_u32_e32 v3, vcc, 0, v3, vcc
	s_waitcnt vmcnt(0) lgkmcnt(0)
	v_mul_f64 v[10:11], v[16:17], v[8:9]
	v_mul_f64 v[8:9], v[14:15], v[8:9]
	v_fmac_f64_e32 v[10:11], v[14:15], v[6:7]
	v_fma_f64 v[8:9], v[6:7], v[16:17], -v[8:9]
	v_mul_f64 v[6:7], v[10:11], s[0:1]
	v_mul_f64 v[8:9], v[8:9], s[0:1]
	global_store_dwordx4 v[18:19], v[6:9], off
	global_load_dwordx4 v[6:9], v[20:21], off offset:1536
	ds_read_b128 v[10:13], v201 offset:13824
	ds_read_b128 v[14:17], v201 offset:14976
	v_mad_u64_u32 v[18:19], s[6:7], s4, v4, v[18:19]
	v_add_u32_e32 v19, s2, v19
	s_waitcnt vmcnt(0) lgkmcnt(1)
	v_mul_f64 v[22:23], v[12:13], v[8:9]
	v_mul_f64 v[8:9], v[10:11], v[8:9]
	v_fmac_f64_e32 v[22:23], v[10:11], v[6:7]
	v_fma_f64 v[8:9], v[6:7], v[12:13], -v[8:9]
	v_mul_f64 v[6:7], v[22:23], s[0:1]
	v_mul_f64 v[8:9], v[8:9], s[0:1]
	global_store_dwordx4 v[18:19], v[6:9], off
	global_load_dwordx4 v[6:9], v[20:21], off offset:2688
	v_mad_u64_u32 v[18:19], s[6:7], s4, v4, v[18:19]
	v_add_u32_e32 v19, s2, v19
	s_waitcnt vmcnt(0) lgkmcnt(0)
	v_mul_f64 v[10:11], v[16:17], v[8:9]
	v_mul_f64 v[8:9], v[14:15], v[8:9]
	v_fmac_f64_e32 v[10:11], v[14:15], v[6:7]
	v_fma_f64 v[8:9], v[6:7], v[16:17], -v[8:9]
	v_mul_f64 v[6:7], v[10:11], s[0:1]
	v_mul_f64 v[8:9], v[8:9], s[0:1]
	global_store_dwordx4 v[18:19], v[6:9], off
	global_load_dwordx4 v[6:9], v[20:21], off offset:3840
	ds_read_b128 v[10:13], v201 offset:16128
	ds_read_b128 v[14:17], v201 offset:17280
	v_mad_u64_u32 v[18:19], s[6:7], s4, v4, v[18:19]
	v_add_u32_e32 v19, s2, v19
	s_waitcnt vmcnt(0) lgkmcnt(1)
	v_mul_f64 v[20:21], v[12:13], v[8:9]
	v_mul_f64 v[8:9], v[10:11], v[8:9]
	v_fmac_f64_e32 v[20:21], v[10:11], v[6:7]
	v_fma_f64 v[8:9], v[6:7], v[12:13], -v[8:9]
	v_mul_f64 v[6:7], v[20:21], s[0:1]
	v_mul_f64 v[8:9], v[8:9], s[0:1]
	global_store_dwordx4 v[18:19], v[6:9], off
	global_load_dwordx4 v[6:9], v[2:3], off offset:896
	v_mad_u64_u32 v[10:11], s[6:7], s4, v4, v[18:19]
	v_or_b32_e32 v13, 0x480, v204
	v_add_u32_e32 v11, s2, v11
	v_lshlrev_b32_e32 v12, 4, v13
	s_waitcnt vmcnt(0) lgkmcnt(0)
	v_mul_f64 v[2:3], v[16:17], v[8:9]
	v_mul_f64 v[4:5], v[14:15], v[8:9]
	v_fmac_f64_e32 v[2:3], v[14:15], v[6:7]
	v_fma_f64 v[4:5], v[6:7], v[16:17], -v[4:5]
	v_mul_f64 v[2:3], v[2:3], s[0:1]
	v_mul_f64 v[4:5], v[4:5], s[0:1]
	global_store_dwordx4 v[10:11], v[2:5], off
	global_load_dwordx4 v[2:5], v12, s[8:9]
	ds_read_b128 v[6:9], v201 offset:18432
	v_mad_u64_u32 v[10:11], s[2:3], s4, v13, 0
	v_mov_b32_e32 v12, v11
	v_mad_u64_u32 v[12:13], s[2:3], s5, v13, v[12:13]
	v_mov_b32_e32 v11, v12
	v_lshl_add_u64 v[0:1], v[10:11], 4, v[0:1]
	s_waitcnt vmcnt(0) lgkmcnt(0)
	v_mul_f64 v[12:13], v[8:9], v[4:5]
	v_mul_f64 v[4:5], v[6:7], v[4:5]
	v_fmac_f64_e32 v[12:13], v[6:7], v[2:3]
	v_fma_f64 v[4:5], v[2:3], v[8:9], -v[4:5]
	v_mul_f64 v[2:3], v[12:13], s[0:1]
	v_mul_f64 v[4:5], v[4:5], s[0:1]
	global_store_dwordx4 v[0:1], v[2:5], off
.LBB0_15:
	s_endpgm
	.section	.rodata,"a",@progbits
	.p2align	6, 0x0
	.amdhsa_kernel bluestein_single_fwd_len1224_dim1_dp_op_CI_CI
		.amdhsa_group_segment_fixed_size 39168
		.amdhsa_private_segment_fixed_size 0
		.amdhsa_kernarg_size 104
		.amdhsa_user_sgpr_count 2
		.amdhsa_user_sgpr_dispatch_ptr 0
		.amdhsa_user_sgpr_queue_ptr 0
		.amdhsa_user_sgpr_kernarg_segment_ptr 1
		.amdhsa_user_sgpr_dispatch_id 0
		.amdhsa_user_sgpr_kernarg_preload_length 0
		.amdhsa_user_sgpr_kernarg_preload_offset 0
		.amdhsa_user_sgpr_private_segment_size 0
		.amdhsa_uses_dynamic_stack 0
		.amdhsa_enable_private_segment 0
		.amdhsa_system_sgpr_workgroup_id_x 1
		.amdhsa_system_sgpr_workgroup_id_y 0
		.amdhsa_system_sgpr_workgroup_id_z 0
		.amdhsa_system_sgpr_workgroup_info 0
		.amdhsa_system_vgpr_workitem_id 0
		.amdhsa_next_free_vgpr 364
		.amdhsa_next_free_sgpr 60
		.amdhsa_accum_offset 256
		.amdhsa_reserve_vcc 1
		.amdhsa_float_round_mode_32 0
		.amdhsa_float_round_mode_16_64 0
		.amdhsa_float_denorm_mode_32 3
		.amdhsa_float_denorm_mode_16_64 3
		.amdhsa_dx10_clamp 1
		.amdhsa_ieee_mode 1
		.amdhsa_fp16_overflow 0
		.amdhsa_tg_split 0
		.amdhsa_exception_fp_ieee_invalid_op 0
		.amdhsa_exception_fp_denorm_src 0
		.amdhsa_exception_fp_ieee_div_zero 0
		.amdhsa_exception_fp_ieee_overflow 0
		.amdhsa_exception_fp_ieee_underflow 0
		.amdhsa_exception_fp_ieee_inexact 0
		.amdhsa_exception_int_div_zero 0
	.end_amdhsa_kernel
	.text
.Lfunc_end0:
	.size	bluestein_single_fwd_len1224_dim1_dp_op_CI_CI, .Lfunc_end0-bluestein_single_fwd_len1224_dim1_dp_op_CI_CI
                                        ; -- End function
	.section	.AMDGPU.csdata,"",@progbits
; Kernel info:
; codeLenInByte = 26872
; NumSgprs: 66
; NumVgprs: 256
; NumAgprs: 108
; TotalNumVgprs: 364
; ScratchSize: 0
; MemoryBound: 0
; FloatMode: 240
; IeeeMode: 1
; LDSByteSize: 39168 bytes/workgroup (compile time only)
; SGPRBlocks: 8
; VGPRBlocks: 45
; NumSGPRsForWavesPerEU: 66
; NumVGPRsForWavesPerEU: 364
; AccumOffset: 256
; Occupancy: 1
; WaveLimiterHint : 1
; COMPUTE_PGM_RSRC2:SCRATCH_EN: 0
; COMPUTE_PGM_RSRC2:USER_SGPR: 2
; COMPUTE_PGM_RSRC2:TRAP_HANDLER: 0
; COMPUTE_PGM_RSRC2:TGID_X_EN: 1
; COMPUTE_PGM_RSRC2:TGID_Y_EN: 0
; COMPUTE_PGM_RSRC2:TGID_Z_EN: 0
; COMPUTE_PGM_RSRC2:TIDIG_COMP_CNT: 0
; COMPUTE_PGM_RSRC3_GFX90A:ACCUM_OFFSET: 63
; COMPUTE_PGM_RSRC3_GFX90A:TG_SPLIT: 0
	.text
	.p2alignl 6, 3212836864
	.fill 256, 4, 3212836864
	.type	__hip_cuid_189cb0006597eaae,@object ; @__hip_cuid_189cb0006597eaae
	.section	.bss,"aw",@nobits
	.globl	__hip_cuid_189cb0006597eaae
__hip_cuid_189cb0006597eaae:
	.byte	0                               ; 0x0
	.size	__hip_cuid_189cb0006597eaae, 1

	.ident	"AMD clang version 19.0.0git (https://github.com/RadeonOpenCompute/llvm-project roc-6.4.0 25133 c7fe45cf4b819c5991fe208aaa96edf142730f1d)"
	.section	".note.GNU-stack","",@progbits
	.addrsig
	.addrsig_sym __hip_cuid_189cb0006597eaae
	.amdgpu_metadata
---
amdhsa.kernels:
  - .agpr_count:     108
    .args:
      - .actual_access:  read_only
        .address_space:  global
        .offset:         0
        .size:           8
        .value_kind:     global_buffer
      - .actual_access:  read_only
        .address_space:  global
        .offset:         8
        .size:           8
        .value_kind:     global_buffer
      - .actual_access:  read_only
        .address_space:  global
        .offset:         16
        .size:           8
        .value_kind:     global_buffer
      - .actual_access:  read_only
        .address_space:  global
        .offset:         24
        .size:           8
        .value_kind:     global_buffer
      - .actual_access:  read_only
        .address_space:  global
        .offset:         32
        .size:           8
        .value_kind:     global_buffer
      - .offset:         40
        .size:           8
        .value_kind:     by_value
      - .address_space:  global
        .offset:         48
        .size:           8
        .value_kind:     global_buffer
      - .address_space:  global
        .offset:         56
        .size:           8
        .value_kind:     global_buffer
      - .address_space:  global
        .offset:         64
        .size:           8
        .value_kind:     global_buffer
      - .address_space:  global
        .offset:         72
        .size:           8
        .value_kind:     global_buffer
      - .offset:         80
        .size:           4
        .value_kind:     by_value
      - .address_space:  global
        .offset:         88
        .size:           8
        .value_kind:     global_buffer
      - .address_space:  global
        .offset:         96
        .size:           8
        .value_kind:     global_buffer
    .group_segment_fixed_size: 39168
    .kernarg_segment_align: 8
    .kernarg_segment_size: 104
    .language:       OpenCL C
    .language_version:
      - 2
      - 0
    .max_flat_workgroup_size: 204
    .name:           bluestein_single_fwd_len1224_dim1_dp_op_CI_CI
    .private_segment_fixed_size: 0
    .sgpr_count:     66
    .sgpr_spill_count: 0
    .symbol:         bluestein_single_fwd_len1224_dim1_dp_op_CI_CI.kd
    .uniform_work_group_size: 1
    .uses_dynamic_stack: false
    .vgpr_count:     364
    .vgpr_spill_count: 0
    .wavefront_size: 64
amdhsa.target:   amdgcn-amd-amdhsa--gfx950
amdhsa.version:
  - 1
  - 2
...

	.end_amdgpu_metadata
